;; amdgpu-corpus repo=ROCm/rocFFT kind=compiled arch=gfx1030 opt=O3
	.text
	.amdgcn_target "amdgcn-amd-amdhsa--gfx1030"
	.amdhsa_code_object_version 6
	.protected	bluestein_single_back_len756_dim1_half_op_CI_CI ; -- Begin function bluestein_single_back_len756_dim1_half_op_CI_CI
	.globl	bluestein_single_back_len756_dim1_half_op_CI_CI
	.p2align	8
	.type	bluestein_single_back_len756_dim1_half_op_CI_CI,@function
bluestein_single_back_len756_dim1_half_op_CI_CI: ; @bluestein_single_back_len756_dim1_half_op_CI_CI
; %bb.0:
	s_load_dwordx4 s[8:11], s[4:5], 0x28
	v_mul_u32_u24_e32 v1, 0x411, v0
	v_mov_b32_e32 v9, 0
	s_mov_b32 s0, exec_lo
	v_lshrrev_b32_e32 v1, 16, v1
	v_add_nc_u32_e32 v8, s6, v1
	s_waitcnt lgkmcnt(0)
	v_cmpx_gt_u64_e64 s[8:9], v[8:9]
	s_cbranch_execz .LBB0_10
; %bb.1:
	s_clause 0x1
	s_load_dwordx4 s[0:3], s[4:5], 0x18
	s_load_dwordx4 s[12:15], s[4:5], 0x0
	v_mul_lo_u16 v1, v1, 63
	v_sub_nc_u16 v0, v0, v1
	v_and_b32_e32 v60, 0xffff, v0
	v_lshlrev_b32_e32 v52, 2, v60
	v_add_nc_u32_e32 v82, 0x13b, v60
	v_lshlrev_b32_e32 v24, 1, v60
	s_waitcnt lgkmcnt(0)
	s_load_dwordx4 s[16:19], s[0:1], 0x0
	v_lshlrev_b32_e32 v67, 3, v60
	v_add_co_u32 v9, s0, s12, v52
	v_add_co_ci_u32_e64 v10, null, s13, 0, s0
	s_clause 0x3
	global_load_dword v63, v52, s[12:13]
	global_load_dword v61, v52, s[12:13] offset:1512
	global_load_dword v59, v52, s[12:13] offset:1764
	;; [unrolled: 1-line block ×3, first 2 shown]
	v_add_nc_u32_e32 v80, 0x200, v52
	v_add_nc_u32_e32 v81, 0x600, v52
	v_lshlrev_b32_e32 v28, 2, v24
	v_add_nc_u32_e32 v95, 0x1f8, v24
	s_waitcnt lgkmcnt(0)
	v_mad_u64_u32 v[1:2], null, s18, v8, 0
	v_mad_u64_u32 v[3:4], null, s16, v60, 0
	s_mul_i32 s0, s17, 0x5e8
	s_mul_hi_u32 s1, s16, 0x5e8
	s_mul_i32 s6, s16, 0x5e8
	s_add_i32 s1, s1, s0
	s_mul_hi_u32 s8, s16, 0xfffffb14
	s_mul_i32 s7, s17, 0xfffffb14
	v_mad_u64_u32 v[5:6], null, s19, v8, v[2:3]
	s_mul_i32 s9, s16, 0xfffffb14
	s_sub_i32 s0, s8, s16
	s_add_i32 s0, s0, s7
	v_mad_u64_u32 v[6:7], null, s17, v60, v[4:5]
	v_mov_b32_e32 v2, v5
	v_lshlrev_b64 v[1:2], 2, v[1:2]
	v_mov_b32_e32 v4, v6
	v_add_co_u32 v1, vcc_lo, s10, v1
	v_lshlrev_b64 v[3:4], 2, v[3:4]
	v_add_co_ci_u32_e32 v2, vcc_lo, s11, v2, vcc_lo
	v_add_co_u32 v1, vcc_lo, v1, v3
	v_add_co_ci_u32_e32 v2, vcc_lo, v2, v4, vcc_lo
	v_add_co_u32 v3, vcc_lo, v1, s6
	v_add_co_ci_u32_e32 v4, vcc_lo, s1, v2, vcc_lo
	s_clause 0x1
	global_load_dword v7, v[1:2], off
	global_load_dword v11, v[3:4], off
	v_add_co_u32 v1, vcc_lo, v3, s9
	v_add_co_ci_u32_e32 v2, vcc_lo, s0, v4, vcc_lo
	v_add_co_u32 v3, vcc_lo, v1, s6
	v_add_co_ci_u32_e32 v4, vcc_lo, s1, v2, vcc_lo
	global_load_dword v12, v[1:2], off
	v_add_co_u32 v1, vcc_lo, v3, s9
	v_add_co_ci_u32_e32 v2, vcc_lo, s0, v4, vcc_lo
	s_clause 0x3
	global_load_dword v62, v52, s[12:13] offset:252
	global_load_dword v58, v52, s[12:13] offset:504
	;; [unrolled: 1-line block ×4, first 2 shown]
	s_clause 0x1
	global_load_dword v13, v[3:4], off
	global_load_dword v14, v[1:2], off
	v_add_co_u32 v1, vcc_lo, v1, s6
	v_add_co_ci_u32_e32 v2, vcc_lo, s1, v2, vcc_lo
	v_add_co_u32 v3, vcc_lo, 0x800, v9
	v_add_co_ci_u32_e32 v4, vcc_lo, 0, v10, vcc_lo
	global_load_dword v9, v[1:2], off
	v_add_co_u32 v1, vcc_lo, v1, s9
	v_add_co_ci_u32_e32 v2, vcc_lo, s0, v2, vcc_lo
	global_load_dword v55, v[3:4], off offset:220
	v_add_co_u32 v5, vcc_lo, v1, s6
	v_add_co_ci_u32_e32 v6, vcc_lo, s1, v2, vcc_lo
	global_load_dword v10, v[1:2], off
	v_add_co_u32 v1, vcc_lo, v5, s9
	v_add_co_ci_u32_e32 v2, vcc_lo, s0, v6, vcc_lo
	global_load_dword v15, v[5:6], off
	;; [unrolled: 3-line block ×4, first 2 shown]
	v_add_co_u32 v5, vcc_lo, v1, s6
	v_add_co_ci_u32_e32 v6, vcc_lo, s1, v2, vcc_lo
	global_load_dword v53, v[3:4], off offset:472
	global_load_dword v18, v[1:2], off
	global_load_dword v6, v[5:6], off
	s_clause 0x1
	global_load_dword v51, v52, s[12:13] offset:1260
	global_load_dword v50, v[3:4], off offset:724
	v_add_nc_u32_e32 v2, 0x400, v52
	v_add_nc_u32_e32 v3, 0x800, v52
	s_load_dwordx4 s[8:11], s[2:3], 0x0
	v_add_co_u32 v4, null, 0xbd, v60
	v_add_co_u32 v1, null, v60, 63
	v_add_co_u32 v5, null, 0x7e, v60
	v_and_b32_e32 v27, 1, v4
	v_lshlrev_b32_e32 v72, 3, v1
	v_lshlrev_b32_e32 v73, 3, v4
	;; [unrolled: 1-line block ×3, first 2 shown]
	v_cmp_gt_u16_e32 vcc_lo, 36, v0
	v_lshlrev_b32_e32 v31, 2, v27
	s_load_dwordx2 s[2:3], s[4:5], 0x38
	s_waitcnt vmcnt(19)
	v_lshrrev_b32_e32 v19, 16, v7
	v_mul_f16_sdwa v20, v63, v7 dst_sel:DWORD dst_unused:UNUSED_PAD src0_sel:WORD_1 src1_sel:DWORD
	s_waitcnt vmcnt(18)
	v_lshrrev_b32_e32 v22, 16, v11
	v_mul_f16_sdwa v23, v61, v11 dst_sel:DWORD dst_unused:UNUSED_PAD src0_sel:WORD_1 src1_sel:DWORD
	v_mul_f16_sdwa v21, v63, v19 dst_sel:DWORD dst_unused:UNUSED_PAD src0_sel:WORD_1 src1_sel:DWORD
	v_fma_f16 v19, v63, v19, -v20
	v_fmac_f16_e32 v21, v63, v7
	v_mul_f16_sdwa v7, v61, v22 dst_sel:DWORD dst_unused:UNUSED_PAD src0_sel:WORD_1 src1_sel:DWORD
	v_fma_f16 v22, v61, v22, -v23
	s_waitcnt vmcnt(17)
	v_lshrrev_b32_e32 v20, 16, v12
	s_waitcnt vmcnt(16)
	v_mul_f16_sdwa v23, v62, v12 dst_sel:DWORD dst_unused:UNUSED_PAD src0_sel:WORD_1 src1_sel:DWORD
	v_pack_b32_f16 v19, v21, v19
	v_fmac_f16_e32 v7, v61, v11
	s_waitcnt vmcnt(12)
	v_lshrrev_b32_e32 v21, 16, v13
	v_mul_f16_sdwa v11, v62, v20 dst_sel:DWORD dst_unused:UNUSED_PAD src0_sel:WORD_1 src1_sel:DWORD
	v_mul_f16_sdwa v25, v59, v13 dst_sel:DWORD dst_unused:UNUSED_PAD src0_sel:WORD_1 src1_sel:DWORD
	v_fma_f16 v20, v62, v20, -v23
	v_pack_b32_f16 v7, v7, v22
	s_waitcnt vmcnt(11)
	v_lshrrev_b32_e32 v22, 16, v14
	v_fmac_f16_e32 v11, v62, v12
	v_mul_f16_sdwa v12, v59, v21 dst_sel:DWORD dst_unused:UNUSED_PAD src0_sel:WORD_1 src1_sel:DWORD
	v_fma_f16 v21, v59, v21, -v25
	ds_write_b32 v52, v7 offset:1512
	v_mul_f16_sdwa v23, v58, v14 dst_sel:DWORD dst_unused:UNUSED_PAD src0_sel:WORD_1 src1_sel:DWORD
	v_pack_b32_f16 v7, v11, v20
	v_fmac_f16_e32 v12, v59, v13
	v_mul_f16_sdwa v11, v58, v22 dst_sel:DWORD dst_unused:UNUSED_PAD src0_sel:WORD_1 src1_sel:DWORD
	s_waitcnt vmcnt(10)
	v_lshrrev_b32_e32 v20, 16, v9
	v_fma_f16 v13, v58, v22, -v23
	ds_write2_b32 v52, v19, v7 offset1:63
	v_pack_b32_f16 v7, v12, v21
	v_fmac_f16_e32 v11, v58, v14
	v_mul_f16_sdwa v12, v57, v20 dst_sel:DWORD dst_unused:UNUSED_PAD src0_sel:WORD_1 src1_sel:DWORD
	s_waitcnt vmcnt(8)
	v_lshrrev_b32_e32 v14, 16, v10
	v_mul_f16_sdwa v22, v57, v9 dst_sel:DWORD dst_unused:UNUSED_PAD src0_sel:WORD_1 src1_sel:DWORD
	v_mul_f16_sdwa v19, v56, v10 dst_sel:DWORD dst_unused:UNUSED_PAD src0_sel:WORD_1 src1_sel:DWORD
	v_pack_b32_f16 v11, v11, v13
	v_fmac_f16_e32 v12, v57, v9
	v_mul_f16_sdwa v9, v56, v14 dst_sel:DWORD dst_unused:UNUSED_PAD src0_sel:WORD_1 src1_sel:DWORD
	v_fma_f16 v20, v57, v20, -v22
	v_fma_f16 v13, v56, v14, -v19
	s_waitcnt vmcnt(7)
	v_lshrrev_b32_e32 v14, 16, v15
	v_mul_f16_sdwa v19, v55, v15 dst_sel:DWORD dst_unused:UNUSED_PAD src0_sel:WORD_1 src1_sel:DWORD
	v_fmac_f16_e32 v9, v56, v10
	s_waitcnt vmcnt(6)
	v_lshrrev_b32_e32 v10, 16, v16
	v_pack_b32_f16 v12, v12, v20
	v_mul_f16_sdwa v20, v55, v14 dst_sel:DWORD dst_unused:UNUSED_PAD src0_sel:WORD_1 src1_sel:DWORD
	v_fma_f16 v14, v55, v14, -v19
	v_mul_f16_sdwa v19, v54, v16 dst_sel:DWORD dst_unused:UNUSED_PAD src0_sel:WORD_1 src1_sel:DWORD
	v_pack_b32_f16 v9, v9, v13
	v_mul_f16_sdwa v13, v54, v10 dst_sel:DWORD dst_unused:UNUSED_PAD src0_sel:WORD_1 src1_sel:DWORD
	v_fmac_f16_e32 v20, v55, v15
	s_waitcnt vmcnt(5)
	v_lshrrev_b32_e32 v15, 16, v17
	v_fma_f16 v10, v54, v10, -v19
	s_waitcnt vmcnt(4)
	v_mul_f16_sdwa v19, v53, v17 dst_sel:DWORD dst_unused:UNUSED_PAD src0_sel:WORD_1 src1_sel:DWORD
	v_fmac_f16_e32 v13, v54, v16
	s_waitcnt vmcnt(3)
	v_lshrrev_b32_e32 v16, 16, v18
	s_waitcnt vmcnt(2)
	v_lshrrev_b32_e32 v22, 16, v6
	v_mul_f16_sdwa v21, v53, v15 dst_sel:DWORD dst_unused:UNUSED_PAD src0_sel:WORD_1 src1_sel:DWORD
	v_fma_f16 v15, v53, v15, -v19
	s_waitcnt vmcnt(1)
	v_mul_f16_sdwa v19, v51, v18 dst_sel:DWORD dst_unused:UNUSED_PAD src0_sel:WORD_1 src1_sel:DWORD
	v_mul_f16_sdwa v23, v51, v16 dst_sel:DWORD dst_unused:UNUSED_PAD src0_sel:WORD_1 src1_sel:DWORD
	s_waitcnt vmcnt(0)
	v_mul_f16_sdwa v25, v50, v6 dst_sel:DWORD dst_unused:UNUSED_PAD src0_sel:WORD_1 src1_sel:DWORD
	v_mul_f16_sdwa v26, v50, v22 dst_sel:DWORD dst_unused:UNUSED_PAD src0_sel:WORD_1 src1_sel:DWORD
	v_fmac_f16_e32 v21, v53, v17
	v_fma_f16 v16, v51, v16, -v19
	v_fmac_f16_e32 v23, v51, v18
	v_fma_f16 v17, v50, v22, -v25
	v_fmac_f16_e32 v26, v50, v6
	v_pack_b32_f16 v6, v20, v14
	v_pack_b32_f16 v10, v13, v10
	;; [unrolled: 1-line block ×5, first 2 shown]
	ds_write2_b32 v2, v7, v12 offset0:185 offset1:248
	ds_write2_b32 v52, v11, v9 offset0:126 offset1:189
	ds_write2_b32 v3, v6, v13 offset0:55 offset1:118
	ds_write2_b32 v80, v10, v14 offset0:124 offset1:187
	ds_write_b32 v52, v15 offset:2772
	s_waitcnt lgkmcnt(0)
	s_barrier
	buffer_gl0_inv
	ds_read2_b32 v[6:7], v52 offset1:63
	ds_read2_b32 v[9:10], v2 offset0:122 offset1:185
	ds_read2_b32 v[11:12], v52 offset0:126 offset1:189
	;; [unrolled: 1-line block ×5, first 2 shown]
	v_and_b32_e32 v25, 1, v60
	v_and_b32_e32 v26, 1, v82
	s_waitcnt lgkmcnt(0)
	s_barrier
	buffer_gl0_inv
	v_lshlrev_b32_e32 v29, 2, v25
	v_lshlrev_b32_e32 v30, 2, v26
	v_pk_add_f16 v19, v6, v9 neg_lo:[0,1] neg_hi:[0,1]
	v_pk_add_f16 v10, v7, v10 neg_lo:[0,1] neg_hi:[0,1]
	;; [unrolled: 1-line block ×6, first 2 shown]
	v_pk_fma_f16 v18, v6, 2.0, v19 op_sel_hi:[1,0,1] neg_lo:[0,0,1] neg_hi:[0,0,1]
	v_pk_fma_f16 v9, v7, 2.0, v10 op_sel_hi:[1,0,1] neg_lo:[0,0,1] neg_hi:[0,0,1]
	;; [unrolled: 1-line block ×6, first 2 shown]
	ds_write_b64 v67, v[18:19]
	ds_write_b64 v72, v[9:10]
	;; [unrolled: 1-line block ×4, first 2 shown]
	ds_write_b64 v28, v[22:23] offset:2016
	ds_write_b64 v67, v[16:17] offset:2520
	v_and_b32_e32 v9, 1, v1
	s_waitcnt lgkmcnt(0)
	s_barrier
	buffer_gl0_inv
	s_clause 0x2
	global_load_dword v64, v29, s[14:15]
	global_load_dword v65, v30, s[14:15]
	global_load_ushort v66, v31, s[14:15] offset:2
	v_lshlrev_b32_e32 v6, 2, v9
	s_clause 0x2
	global_load_ushort v70, v30, s[14:15] offset:2
	global_load_ushort v69, v6, s[14:15]
	global_load_ushort v68, v31, s[14:15]
	v_lshlrev_b32_e32 v10, 1, v1
	v_lshlrev_b32_e32 v11, 1, v4
	;; [unrolled: 1-line block ×3, first 2 shown]
	v_and_or_b32 v21, 0x7c, v24, v25
	v_lshlrev_b32_e32 v15, 1, v5
	v_and_or_b32 v24, 0xfc, v10, v9
	ds_read2_b32 v[9:10], v2 offset0:122 offset1:185
	v_and_or_b32 v27, 0x1fc, v11, v27
	ds_read2_b32 v[11:12], v81 offset0:120 offset1:183
	;; [unrolled: 2-line block ×3, first 2 shown]
	v_and_or_b32 v28, 0x1fc, v15, v25
	ds_read2_b32 v[15:16], v52 offset1:63
	ds_read2_b32 v[19:20], v52 offset0:126 offset1:189
	v_lshlrev_b32_e32 v74, 2, v21
	ds_read2_b32 v[21:22], v80 offset0:124 offset1:187
	v_and_or_b32 v25, 0x3fc, v95, v25
	v_lshlrev_b32_e32 v75, 2, v24
	v_lshlrev_b32_e32 v79, 2, v26
	;; [unrolled: 1-line block ×5, first 2 shown]
	v_and_b32_e32 v6, 3, v60
	v_and_b32_e32 v7, 3, v1
	;; [unrolled: 1-line block ×4, first 2 shown]
	s_waitcnt lgkmcnt(5)
	v_lshrrev_b32_e32 v24, 16, v9
	v_lshrrev_b32_e32 v25, 16, v10
	s_waitcnt lgkmcnt(4)
	v_lshrrev_b32_e32 v26, 16, v11
	v_lshrrev_b32_e32 v27, 16, v12
	;; [unrolled: 3-line block ×6, first 2 shown]
	v_lshlrev_b32_e32 v23, 3, v6
	v_lshlrev_b32_e32 v29, 3, v7
	s_waitcnt vmcnt(0)
	s_barrier
	buffer_gl0_inv
	v_mul_f16_sdwa v37, v24, v64 dst_sel:DWORD dst_unused:UNUSED_PAD src0_sel:DWORD src1_sel:WORD_1
	v_mul_f16_sdwa v38, v9, v64 dst_sel:DWORD dst_unused:UNUSED_PAD src0_sel:DWORD src1_sel:WORD_1
	v_mul_f16_sdwa v39, v25, v65 dst_sel:DWORD dst_unused:UNUSED_PAD src0_sel:DWORD src1_sel:WORD_1
	v_mul_f16_sdwa v40, v10, v65 dst_sel:DWORD dst_unused:UNUSED_PAD src0_sel:DWORD src1_sel:WORD_1
	v_mul_f16_sdwa v41, v26, v64 dst_sel:DWORD dst_unused:UNUSED_PAD src0_sel:DWORD src1_sel:WORD_1
	v_mul_f16_sdwa v43, v11, v64 dst_sel:DWORD dst_unused:UNUSED_PAD src0_sel:DWORD src1_sel:WORD_1
	v_mul_f16_e32 v42, v27, v66
	v_mul_f16_e32 v44, v12, v66
	v_mul_f16_sdwa v45, v28, v64 dst_sel:DWORD dst_unused:UNUSED_PAD src0_sel:DWORD src1_sel:WORD_1
	v_mul_f16_sdwa v47, v13, v64 dst_sel:DWORD dst_unused:UNUSED_PAD src0_sel:DWORD src1_sel:WORD_1
	v_mul_f16_e32 v46, v30, v70
	v_mul_f16_e32 v48, v14, v70
	v_fma_f16 v9, v9, v64, -v37
	v_fmac_f16_e32 v38, v24, v64
	v_fma_f16 v10, v10, v69, -v39
	v_fmac_f16_e32 v40, v25, v69
	;; [unrolled: 2-line block ×6, first 2 shown]
	v_sub_f16_e32 v9, v15, v9
	v_sub_f16_e32 v24, v31, v38
	;; [unrolled: 1-line block ×12, first 2 shown]
	v_fma_f16 v15, v15, 2.0, -v9
	v_fma_f16 v31, v31, 2.0, -v24
	;; [unrolled: 1-line block ×3, first 2 shown]
	v_pack_b32_f16 v9, v9, v24
	v_fma_f16 v24, v32, 2.0, -v25
	v_fma_f16 v19, v19, 2.0, -v11
	v_pack_b32_f16 v10, v10, v25
	v_fma_f16 v25, v33, 2.0, -v26
	v_fma_f16 v20, v20, 2.0, -v12
	;; [unrolled: 3-line block ×4, first 2 shown]
	v_pack_b32_f16 v13, v13, v28
	v_fma_f16 v28, v36, 2.0, -v30
	v_pack_b32_f16 v15, v15, v31
	v_pack_b32_f16 v16, v16, v24
	;; [unrolled: 1-line block ×7, first 2 shown]
	ds_write2_b32 v74, v15, v9 offset1:2
	ds_write2_b32 v75, v16, v10 offset1:2
	;; [unrolled: 1-line block ×6, first 2 shown]
	v_lshlrev_b32_e32 v11, 3, v17
	s_waitcnt lgkmcnt(0)
	s_barrier
	buffer_gl0_inv
	s_clause 0x1
	global_load_dwordx2 v[13:14], v23, s[14:15] offset:8
	global_load_dwordx2 v[9:10], v29, s[14:15] offset:8
	v_lshlrev_b32_e32 v12, 3, v18
	s_clause 0x1
	global_load_dwordx2 v[15:16], v11, s[14:15] offset:8
	global_load_dwordx2 v[11:12], v12, s[14:15] offset:8
	v_and_b32_e32 v19, 0xff, v0
	v_lshrrev_b32_e32 v20, 2, v60
	v_lshrrev_b32_e32 v21, 2, v1
	;; [unrolled: 1-line block ×3, first 2 shown]
	v_and_b32_e32 v28, 0xff, v1
	v_mul_lo_u16 v19, 0xab, v19
	v_and_b32_e32 v29, 0xff, v5
	v_mul_u32_u24_e32 v20, 12, v20
	v_lshrrev_b32_e32 v22, 2, v5
	v_and_b32_e32 v30, 0xff, v4
	v_lshrrev_b16 v27, 11, v19
	v_mul_u32_u24_e32 v19, 12, v21
	v_mul_u32_u24_e32 v21, 12, v23
	v_mul_lo_u16 v23, 0xab, v28
	v_mul_lo_u16 v24, 0xab, v29
	v_or_b32_e32 v6, v20, v6
	v_mul_u32_u24_e32 v20, 12, v22
	v_mul_lo_u16 v22, v27, 12
	v_lshrrev_b16 v32, 11, v23
	v_lshrrev_b16 v33, 11, v24
	v_lshlrev_b32_e32 v83, 2, v6
	v_or_b32_e32 v6, v19, v7
	v_or_b32_e32 v7, v20, v17
	v_mul_lo_u16 v25, 0xab, v30
	v_or_b32_e32 v31, v21, v18
	v_mul_lo_u16 v21, v32, 12
	v_mul_lo_u16 v23, v33, 12
	v_lshlrev_b32_e32 v85, 2, v6
	v_lshlrev_b32_e32 v84, 2, v7
	ds_read2_b32 v[6:7], v80 offset0:124 offset1:187
	ds_read2_b32 v[17:18], v81 offset0:120 offset1:183
	v_sub_nc_u16 v19, v0, v22
	v_lshrrev_b16 v34, 11, v25
	v_sub_nc_u16 v36, v1, v21
	ds_read2_b32 v[21:22], v2 offset0:122 offset1:185
	v_sub_nc_u16 v37, v5, v23
	ds_read2_b32 v[23:24], v3 offset0:118 offset1:181
	v_mul_lo_u16 v25, v34, 12
	v_and_b32_e32 v35, 0xff, v19
	ds_read2_b32 v[19:20], v52 offset1:63
	v_and_b32_e32 v39, 0xff, v36
	v_and_b32_e32 v37, 0xff, v37
	v_sub_nc_u16 v38, v4, v25
	ds_read2_b32 v[25:26], v52 offset0:126 offset1:189
	v_lshlrev_b32_e32 v86, 2, v31
	v_lshlrev_b32_e32 v31, 3, v35
	;; [unrolled: 1-line block ×3, first 2 shown]
	v_and_b32_e32 v38, 0xff, v38
	s_waitcnt vmcnt(0) lgkmcnt(0)
	v_lshrrev_b32_e32 v40, 16, v6
	v_lshrrev_b32_e32 v41, 16, v7
	;; [unrolled: 1-line block ×4, first 2 shown]
	s_barrier
	v_lshrrev_b32_e32 v46, 16, v21
	v_lshrrev_b32_e32 v47, 16, v22
	;; [unrolled: 1-line block ×4, first 2 shown]
	buffer_gl0_inv
	v_lshrrev_b32_e32 v45, 16, v19
	v_lshrrev_b32_e32 v44, 16, v20
	v_mul_lo_u16 v29, v29, 57
	v_mul_lo_u16 v28, v28, 57
	v_lshrrev_b32_e32 v87, 16, v26
	v_lshrrev_b32_e32 v88, 16, v25
	v_mul_lo_u16 v27, v27, 36
	v_mul_lo_u16 v30, v30, 57
	v_mul_f16_sdwa v89, v40, v13 dst_sel:DWORD dst_unused:UNUSED_PAD src0_sel:DWORD src1_sel:WORD_1
	v_mul_f16_sdwa v90, v41, v9 dst_sel:DWORD dst_unused:UNUSED_PAD src0_sel:DWORD src1_sel:WORD_1
	;; [unrolled: 1-line block ×16, first 2 shown]
	v_fma_f16 v6, v6, v13, -v89
	v_fma_f16 v7, v7, v9, -v90
	;; [unrolled: 1-line block ×4, first 2 shown]
	v_fmac_f16_e32 v92, v41, v9
	v_fmac_f16_e32 v96, v43, v10
	;; [unrolled: 1-line block ×4, first 2 shown]
	v_fma_f16 v21, v21, v15, -v98
	v_fma_f16 v23, v23, v16, -v102
	v_fmac_f16_e32 v101, v47, v11
	v_fmac_f16_e32 v104, v49, v12
	v_fmac_f16_e32 v100, v46, v15
	v_fmac_f16_e32 v105, v48, v16
	v_fma_f16 v22, v22, v11, -v99
	v_fma_f16 v24, v24, v12, -v103
	v_add_f16_e32 v40, v7, v18
	v_add_f16_e32 v42, v92, v96
	;; [unrolled: 1-line block ×10, first 2 shown]
	v_sub_f16_e32 v98, v101, v104
	v_add_f16_e32 v99, v21, v23
	v_add_f16_e32 v101, v25, v21
	;; [unrolled: 1-line block ×4, first 2 shown]
	v_sub_f16_e32 v46, v92, v96
	v_sub_f16_e32 v7, v7, v18
	;; [unrolled: 1-line block ×4, first 2 shown]
	v_add_f16_e32 v91, v22, v24
	v_fmac_f16_e32 v20, -0.5, v40
	v_fmac_f16_e32 v44, -0.5, v42
	v_fma_f16 v19, -0.5, v47, v19
	v_add_f16_e32 v17, v48, v17
	v_add_f16_e32 v40, v49, v97
	v_fmac_f16_e32 v45, -0.5, v89
	v_add_f16_e32 v92, v26, v22
	v_sub_f16_e32 v22, v22, v24
	v_sub_f16_e32 v21, v21, v23
	v_sub_f16_e32 v100, v100, v105
	v_add_f16_e32 v18, v41, v18
	v_add_f16_e32 v41, v43, v96
	v_fmac_f16_e32 v87, -0.5, v93
	v_fma_f16 v25, -0.5, v99, v25
	v_add_f16_e32 v23, v101, v23
	v_add_f16_e32 v42, v102, v105
	v_fmac_f16_e32 v88, -0.5, v103
	v_fmac_f16_e32 v26, -0.5, v91
	v_fmamk_f16 v47, v46, 0x3aee, v20
	v_fmac_f16_e32 v20, 0xbaee, v46
	v_fmamk_f16 v46, v7, 0xbaee, v44
	v_fmac_f16_e32 v44, 0x3aee, v7
	v_pack_b32_f16 v7, v17, v40
	v_fmamk_f16 v17, v90, 0x3aee, v19
	v_fmamk_f16 v40, v6, 0xbaee, v45
	v_fmac_f16_e32 v19, 0xbaee, v90
	v_fmac_f16_e32 v45, 0x3aee, v6
	v_add_f16_e32 v24, v92, v24
	v_add_f16_e32 v43, v94, v104
	v_pack_b32_f16 v6, v18, v41
	v_fmamk_f16 v41, v22, 0xbaee, v87
	v_fmac_f16_e32 v87, 0x3aee, v22
	v_pack_b32_f16 v22, v23, v42
	v_fmamk_f16 v23, v100, 0x3aee, v25
	v_fmamk_f16 v42, v21, 0xbaee, v88
	;; [unrolled: 1-line block ×3, first 2 shown]
	v_fmac_f16_e32 v26, 0xbaee, v98
	v_fmac_f16_e32 v25, 0xbaee, v100
	;; [unrolled: 1-line block ×3, first 2 shown]
	v_pack_b32_f16 v17, v17, v40
	v_pack_b32_f16 v19, v19, v45
	;; [unrolled: 1-line block ×9, first 2 shown]
	ds_write2_b32 v83, v7, v17 offset1:4
	ds_write_b32 v83, v19 offset:32
	ds_write2_b32 v85, v6, v24 offset1:4
	ds_write_b32 v85, v20 offset:32
	ds_write2_b32 v84, v22, v23 offset1:4
	ds_write_b32 v84, v25 offset:32
	ds_write2_b32 v86, v21, v18 offset1:4
	ds_write_b32 v86, v26 offset:32
	v_lshlrev_b32_e32 v6, 3, v37
	s_waitcnt lgkmcnt(0)
	s_barrier
	buffer_gl0_inv
	s_clause 0x1
	global_load_dwordx2 v[19:20], v31, s[14:15] offset:40
	global_load_dwordx2 v[17:18], v36, s[14:15] offset:40
	v_lshlrev_b32_e32 v7, 3, v38
	s_clause 0x1
	global_load_dwordx2 v[23:24], v6, s[14:15] offset:40
	global_load_dwordx2 v[21:22], v7, s[14:15] offset:40
	v_add_co_u32 v6, s0, 0xffffffdc, v60
	v_add_co_ci_u32_e64 v7, null, 0, -1, s0
	v_mov_b32_e32 v31, 36
	v_cndmask_b32_e32 v6, v6, v60, vcc_lo
	v_lshrrev_b16 v44, 11, v29
	v_cndmask_b32_e64 v7, v7, 0, vcc_lo
	v_lshrrev_b16 v46, 11, v28
	v_mul_u32_u24_sdwa v41, v33, v31 dst_sel:DWORD dst_unused:UNUSED_PAD src0_sel:WORD_0 src1_sel:DWORD
	v_lshrrev_b16 v45, 11, v30
	v_mul_lo_u16 v36, v44, 36
	v_lshlrev_b64 v[25:26], 3, v[6:7]
	v_and_b32_e32 v7, 0xfc, v27
	v_mul_lo_u16 v33, v46, 36
	ds_read2_b32 v[27:28], v80 offset0:124 offset1:187
	ds_read2_b32 v[29:30], v81 offset0:120 offset1:183
	v_mul_u32_u24_sdwa v42, v34, v31 dst_sel:DWORD dst_unused:UNUSED_PAD src0_sel:WORD_0 src1_sel:DWORD
	v_add_lshl_u32 v87, v7, v35, 2
	v_sub_nc_u16 v7, v1, v33
	ds_read2_b32 v[33:34], v2 offset0:122 offset1:185
	v_sub_nc_u16 v47, v5, v36
	ds_read2_b32 v[35:36], v3 offset0:118 offset1:181
	v_mul_lo_u16 v43, v45, 36
	v_mul_u32_u24_sdwa v40, v32, v31 dst_sel:DWORD dst_unused:UNUSED_PAD src0_sel:WORD_0 src1_sel:DWORD
	ds_read2_b32 v[31:32], v52 offset1:63
	v_add_lshl_u32 v89, v41, v37, 2
	v_add_lshl_u32 v88, v42, v38, 2
	v_sub_nc_u16 v43, v4, v43
	ds_read2_b32 v[4:5], v52 offset0:126 offset1:189
	v_add_lshl_u32 v90, v40, v39, 2
	v_and_b32_e32 v7, 0xff, v7
	v_add_co_u32 v25, vcc_lo, s14, v25
	v_add_co_ci_u32_e32 v26, vcc_lo, s15, v26, vcc_lo
	s_waitcnt lgkmcnt(5)
	v_lshrrev_b32_e32 v38, 16, v27
	v_lshrrev_b32_e32 v39, 16, v28
	s_waitcnt lgkmcnt(4)
	v_lshrrev_b32_e32 v40, 16, v29
	v_lshrrev_b32_e32 v41, 16, v30
	;; [unrolled: 3-line block ×4, first 2 shown]
	v_lshlrev_b32_e32 v37, 3, v7
	s_waitcnt lgkmcnt(1)
	v_lshrrev_b32_e32 v48, 16, v31
	v_lshrrev_b32_e32 v42, 16, v32
	v_and_b32_e32 v47, 0xff, v47
	s_waitcnt vmcnt(0) lgkmcnt(0)
	v_lshrrev_b32_e32 v94, 16, v5
	v_lshrrev_b32_e32 v96, 16, v4
	s_barrier
	buffer_gl0_inv
	v_cmp_lt_u16_e32 vcc_lo, 35, v0
	v_mul_f16_sdwa v97, v38, v19 dst_sel:DWORD dst_unused:UNUSED_PAD src0_sel:DWORD src1_sel:WORD_1
	v_mul_f16_sdwa v98, v39, v17 dst_sel:DWORD dst_unused:UNUSED_PAD src0_sel:DWORD src1_sel:WORD_1
	;; [unrolled: 1-line block ×16, first 2 shown]
	v_fma_f16 v27, v27, v19, -v97
	v_fma_f16 v28, v28, v17, -v98
	;; [unrolled: 1-line block ×4, first 2 shown]
	v_fmac_f16_e32 v100, v39, v17
	v_fmac_f16_e32 v103, v41, v18
	;; [unrolled: 1-line block ×4, first 2 shown]
	v_fma_f16 v33, v33, v23, -v105
	v_fma_f16 v35, v35, v24, -v109
	v_fmac_f16_e32 v108, v91, v21
	v_fmac_f16_e32 v111, v93, v22
	;; [unrolled: 1-line block ×4, first 2 shown]
	v_fma_f16 v34, v34, v21, -v106
	v_fma_f16 v36, v36, v22, -v110
	v_add_f16_e32 v38, v28, v30
	v_add_f16_e32 v40, v100, v103
	;; [unrolled: 1-line block ×10, first 2 shown]
	v_sub_f16_e32 v105, v108, v111
	v_add_f16_e32 v106, v33, v35
	v_add_f16_e32 v108, v4, v33
	;; [unrolled: 1-line block ×4, first 2 shown]
	v_sub_f16_e32 v49, v100, v103
	v_sub_f16_e32 v28, v28, v30
	;; [unrolled: 1-line block ×4, first 2 shown]
	v_add_f16_e32 v99, v34, v36
	v_fmac_f16_e32 v32, -0.5, v38
	v_fmac_f16_e32 v42, -0.5, v40
	v_fma_f16 v31, -0.5, v91, v31
	v_add_f16_e32 v29, v92, v29
	v_add_f16_e32 v38, v93, v104
	v_fmac_f16_e32 v48, -0.5, v97
	v_add_f16_e32 v100, v5, v34
	v_sub_f16_e32 v34, v34, v36
	v_sub_f16_e32 v33, v33, v35
	;; [unrolled: 1-line block ×3, first 2 shown]
	v_add_f16_e32 v30, v39, v30
	v_add_f16_e32 v39, v41, v103
	v_fmac_f16_e32 v94, -0.5, v101
	v_fma_f16 v4, -0.5, v106, v4
	v_add_f16_e32 v35, v108, v35
	v_add_f16_e32 v40, v109, v112
	v_fmac_f16_e32 v96, -0.5, v110
	v_fmac_f16_e32 v5, -0.5, v99
	v_fmamk_f16 v91, v49, 0x3aee, v32
	v_fmac_f16_e32 v32, 0xbaee, v49
	v_fmamk_f16 v49, v28, 0xbaee, v42
	v_fmac_f16_e32 v42, 0x3aee, v28
	v_pack_b32_f16 v28, v29, v38
	v_fmamk_f16 v29, v98, 0x3aee, v31
	v_fmamk_f16 v38, v27, 0xbaee, v48
	v_fmac_f16_e32 v31, 0xbaee, v98
	v_fmac_f16_e32 v48, 0x3aee, v27
	v_add_f16_e32 v36, v100, v36
	v_add_f16_e32 v41, v102, v111
	v_pack_b32_f16 v27, v30, v39
	v_fmamk_f16 v39, v34, 0xbaee, v94
	v_fmac_f16_e32 v94, 0x3aee, v34
	v_pack_b32_f16 v34, v35, v40
	v_fmamk_f16 v35, v107, 0x3aee, v4
	v_fmamk_f16 v40, v33, 0xbaee, v96
	;; [unrolled: 1-line block ×3, first 2 shown]
	v_fmac_f16_e32 v5, 0xbaee, v105
	v_fmac_f16_e32 v4, 0xbaee, v107
	;; [unrolled: 1-line block ×3, first 2 shown]
	v_pack_b32_f16 v29, v29, v38
	v_pack_b32_f16 v31, v31, v48
	;; [unrolled: 1-line block ×9, first 2 shown]
	ds_write2_b32 v87, v28, v29 offset1:12
	ds_write_b32 v87, v31 offset:96
	ds_write2_b32 v90, v27, v36 offset1:12
	ds_write_b32 v90, v32 offset:96
	;; [unrolled: 2-line block ×4, first 2 shown]
	s_waitcnt lgkmcnt(0)
	s_barrier
	buffer_gl0_inv
	s_clause 0x1
	global_load_dwordx2 v[27:28], v[25:26], off offset:136
	global_load_dwordx2 v[25:26], v37, s[14:15] offset:136
	v_and_b32_e32 v37, 0xff, v43
	v_lshlrev_b32_e32 v4, 3, v47
	v_mov_b32_e32 v48, 0x6c
	v_cndmask_b32_e64 v49, 0, 0x6c, vcc_lo
	v_cmp_gt_u16_e32 vcc_lo, 45, v0
	v_lshlrev_b32_e32 v5, 3, v37
	s_clause 0x1
	global_load_dwordx2 v[31:32], v4, s[14:15] offset:136
	global_load_dwordx2 v[29:30], v5, s[14:15] offset:136
	ds_read2_b32 v[4:5], v80 offset0:124 offset1:187
	ds_read2_b32 v[33:34], v81 offset0:120 offset1:183
	ds_read2_b32 v[35:36], v52 offset1:63
	ds_read2_b32 v[40:41], v2 offset0:122 offset1:185
	ds_read2_b32 v[42:43], v3 offset0:118 offset1:181
	;; [unrolled: 1-line block ×3, first 2 shown]
	v_mul_u32_u24_sdwa v3, v46, v48 dst_sel:DWORD dst_unused:UNUSED_PAD src0_sel:WORD_0 src1_sel:DWORD
	v_mul_u32_u24_sdwa v45, v45, v48 dst_sel:DWORD dst_unused:UNUSED_PAD src0_sel:WORD_0 src1_sel:DWORD
	;; [unrolled: 1-line block ×3, first 2 shown]
	v_add_lshl_u32 v94, v6, v49, 2
	s_waitcnt vmcnt(0) lgkmcnt(0)
	v_add_lshl_u32 v93, v3, v7, 2
	v_add_lshl_u32 v91, v45, v37, 2
	;; [unrolled: 1-line block ×3, first 2 shown]
	s_barrier
	buffer_gl0_inv
	v_lshrrev_b32_e32 v3, 16, v4
	v_lshrrev_b32_e32 v6, 16, v5
	;; [unrolled: 1-line block ×12, first 2 shown]
	v_mul_f16_sdwa v96, v3, v27 dst_sel:DWORD dst_unused:UNUSED_PAD src0_sel:DWORD src1_sel:WORD_1
	v_mul_f16_sdwa v99, v6, v25 dst_sel:DWORD dst_unused:UNUSED_PAD src0_sel:DWORD src1_sel:WORD_1
	;; [unrolled: 1-line block ×8, first 2 shown]
	v_fma_f16 v4, v4, v27, -v96
	v_fma_f16 v5, v5, v25, -v99
	v_mul_f16_sdwa v106, v40, v31 dst_sel:DWORD dst_unused:UNUSED_PAD src0_sel:DWORD src1_sel:WORD_1
	v_mul_f16_sdwa v107, v42, v32 dst_sel:DWORD dst_unused:UNUSED_PAD src0_sel:DWORD src1_sel:WORD_1
	;; [unrolled: 1-line block ×8, first 2 shown]
	v_fma_f16 v33, v33, v28, -v102
	v_fma_f16 v34, v34, v26, -v103
	v_fmac_f16_e32 v100, v3, v27
	v_fmac_f16_e32 v104, v7, v28
	;; [unrolled: 1-line block ×6, first 2 shown]
	v_fma_f16 v3, v40, v31, -v108
	v_fma_f16 v6, v42, v32, -v109
	;; [unrolled: 1-line block ×4, first 2 shown]
	v_fmac_f16_e32 v111, v48, v29
	v_fmac_f16_e32 v113, v49, v30
	v_add_f16_e32 v40, v5, v34
	v_add_f16_e32 v42, v101, v105
	;; [unrolled: 1-line block ×8, first 2 shown]
	v_sub_f16_e32 v46, v101, v105
	v_add_f16_e32 v99, v98, v106
	v_sub_f16_e32 v101, v106, v107
	v_add_f16_e32 v102, v106, v107
	v_add_f16_e32 v103, v38, v3
	;; [unrolled: 1-line block ×5, first 2 shown]
	v_sub_f16_e32 v5, v5, v34
	v_sub_f16_e32 v100, v100, v104
	;; [unrolled: 1-line block ×3, first 2 shown]
	v_fmac_f16_e32 v36, -0.5, v40
	v_fmac_f16_e32 v44, -0.5, v42
	v_fma_f16 v35, -0.5, v47, v35
	v_add_f16_e32 v40, v49, v104
	v_add_f16_e32 v33, v48, v33
	v_fmac_f16_e32 v45, -0.5, v96
	v_sub_f16_e32 v3, v3, v6
	v_add_f16_e32 v109, v39, v7
	v_add_f16_e32 v110, v97, v111
	v_sub_f16_e32 v111, v111, v113
	v_sub_f16_e32 v7, v7, v37
	v_add_f16_e32 v34, v41, v34
	v_add_f16_e32 v41, v43, v105
	;; [unrolled: 1-line block ×4, first 2 shown]
	v_fmac_f16_e32 v98, -0.5, v102
	v_fma_f16 v38, -0.5, v106, v38
	v_fmac_f16_e32 v39, -0.5, v108
	v_fmac_f16_e32 v97, -0.5, v112
	v_fmamk_f16 v47, v46, 0x3aee, v36
	v_fmac_f16_e32 v36, 0xbaee, v46
	v_fmamk_f16 v46, v5, 0xbaee, v44
	v_fmac_f16_e32 v44, 0x3aee, v5
	v_pack_b32_f16 v5, v33, v40
	v_fmamk_f16 v33, v100, 0x3aee, v35
	v_fmamk_f16 v40, v4, 0xbaee, v45
	v_fmac_f16_e32 v35, 0xbaee, v100
	v_fmac_f16_e32 v45, 0x3aee, v4
	v_add_f16_e32 v42, v109, v37
	v_pack_b32_f16 v6, v6, v43
	v_fmamk_f16 v37, v101, 0x3aee, v38
	v_fmamk_f16 v96, v3, 0xbaee, v98
	v_fmac_f16_e32 v38, 0xbaee, v101
	v_fmac_f16_e32 v98, 0x3aee, v3
	v_fmamk_f16 v43, v111, 0x3aee, v39
	v_fmamk_f16 v100, v7, 0xbaee, v97
	v_add_f16_e32 v99, v110, v113
	v_fmac_f16_e32 v39, 0xbaee, v111
	v_fmac_f16_e32 v97, 0x3aee, v7
	v_pack_b32_f16 v33, v33, v40
	v_pack_b32_f16 v4, v34, v41
	;; [unrolled: 1-line block ×10, first 2 shown]
	ds_write2_b32 v94, v5, v33 offset1:36
	ds_write_b32 v94, v34 offset:288
	ds_write2_b32 v93, v4, v35 offset1:36
	ds_write_b32 v93, v7 offset:288
	;; [unrolled: 2-line block ×4, first 2 shown]
	s_waitcnt lgkmcnt(0)
	s_barrier
	buffer_gl0_inv
	ds_read_b32 v104, v52 offset:2592
	ds_read2_b32 v[40:41], v52 offset1:108
	ds_read2_b32 v[48:49], v80 offset0:88 offset1:196
	ds_read2_b32 v[46:47], v81 offset0:48 offset1:156
                                        ; implicit-def: $vgpr102
                                        ; implicit-def: $vgpr101
                                        ; implicit-def: $vgpr103
                                        ; implicit-def: $vgpr45
	s_and_saveexec_b32 s0, vcc_lo
	s_cbranch_execz .LBB0_3
; %bb.2:
	ds_read2_b32 v[37:38], v52 offset0:63 offset1:171
	ds_read2_b32 v[42:43], v2 offset0:23 offset1:131
	;; [unrolled: 1-line block ×3, first 2 shown]
	ds_read_b32 v101, v52 offset:2844
	s_waitcnt lgkmcnt(3)
	v_lshrrev_b32_e32 v96, 16, v37
	v_lshrrev_b32_e32 v98, 16, v38
	s_waitcnt lgkmcnt(2)
	v_lshrrev_b32_e32 v99, 16, v42
	v_lshrrev_b32_e32 v100, 16, v43
	;; [unrolled: 3-line block ×3, first 2 shown]
	s_waitcnt lgkmcnt(0)
	v_lshrrev_b32_e32 v103, 16, v101
	v_mov_b32_e32 v39, v44
.LBB0_3:
	s_or_b32 exec_lo, exec_lo, s0
	v_subrev_nc_u32_e32 v0, 45, v60
	v_mad_u64_u32 v[2:3], null, v60, 24, s[14:15]
	s_waitcnt lgkmcnt(2)
	v_lshrrev_b32_e32 v44, 16, v41
	s_waitcnt lgkmcnt(1)
	v_lshrrev_b32_e32 v105, 16, v48
	v_cndmask_b32_e32 v0, v0, v1, vcc_lo
	v_lshrrev_b32_e32 v106, 16, v49
	s_waitcnt lgkmcnt(0)
	v_lshrrev_b32_e32 v107, 16, v46
	s_clause 0x1
	global_load_dwordx4 v[4:7], v[2:3], off offset:424
	global_load_dwordx2 v[35:36], v[2:3], off offset:440
	v_mul_i32_i24_e32 v1, 24, v0
	v_mul_hi_i32_i24_e32 v0, 24, v0
	v_lshrrev_b32_e32 v108, 16, v47
	v_lshrrev_b32_e32 v109, 16, v104
	v_lshlrev_b32_e32 v95, 2, v95
	v_add_co_u32 v33, s0, s14, v1
	v_add_co_ci_u32_e64 v34, s0, s15, v0, s0
	v_lshlrev_b32_e32 v82, 3, v82
	s_clause 0x1
	global_load_dwordx4 v[0:3], v[33:34], off offset:424
	global_load_dwordx2 v[33:34], v[33:34], off offset:440
	s_waitcnt vmcnt(3)
	v_mul_f16_sdwa v110, v44, v4 dst_sel:DWORD dst_unused:UNUSED_PAD src0_sel:DWORD src1_sel:WORD_1
	v_mul_f16_sdwa v111, v41, v4 dst_sel:DWORD dst_unused:UNUSED_PAD src0_sel:DWORD src1_sel:WORD_1
	v_mul_f16_sdwa v112, v105, v5 dst_sel:DWORD dst_unused:UNUSED_PAD src0_sel:DWORD src1_sel:WORD_1
	v_mul_f16_sdwa v113, v48, v5 dst_sel:DWORD dst_unused:UNUSED_PAD src0_sel:DWORD src1_sel:WORD_1
	v_mul_f16_sdwa v114, v106, v6 dst_sel:DWORD dst_unused:UNUSED_PAD src0_sel:DWORD src1_sel:WORD_1
	v_mul_f16_sdwa v115, v49, v6 dst_sel:DWORD dst_unused:UNUSED_PAD src0_sel:DWORD src1_sel:WORD_1
	v_mul_f16_sdwa v116, v107, v7 dst_sel:DWORD dst_unused:UNUSED_PAD src0_sel:DWORD src1_sel:WORD_1
	v_mul_f16_sdwa v117, v46, v7 dst_sel:DWORD dst_unused:UNUSED_PAD src0_sel:DWORD src1_sel:WORD_1
	s_waitcnt vmcnt(2)
	v_mul_f16_sdwa v118, v108, v35 dst_sel:DWORD dst_unused:UNUSED_PAD src0_sel:DWORD src1_sel:WORD_1
	v_mul_f16_sdwa v119, v47, v35 dst_sel:DWORD dst_unused:UNUSED_PAD src0_sel:DWORD src1_sel:WORD_1
	;; [unrolled: 1-line block ×4, first 2 shown]
	v_fma_f16 v41, v41, v4, -v110
	v_fmac_f16_e32 v111, v44, v4
	v_fma_f16 v44, v48, v5, -v112
	v_fmac_f16_e32 v113, v105, v5
	;; [unrolled: 2-line block ×3, first 2 shown]
	v_fma_f16 v46, v46, v7, -v116
	v_fma_f16 v49, v104, v36, -v120
	v_fmac_f16_e32 v121, v109, v36
	v_fmac_f16_e32 v117, v107, v7
	v_fma_f16 v47, v47, v35, -v118
	v_fmac_f16_e32 v119, v108, v35
	v_add_f16_e32 v104, v41, v49
	v_add_f16_e32 v105, v111, v121
	v_sub_f16_e32 v41, v41, v49
	v_sub_f16_e32 v49, v111, v121
	v_add_f16_e32 v106, v44, v47
	v_add_f16_e32 v107, v113, v119
	v_sub_f16_e32 v44, v44, v47
	v_sub_f16_e32 v47, v113, v119
	v_add_f16_e32 v108, v48, v46
	v_add_f16_e32 v109, v115, v117
	v_sub_f16_e32 v46, v46, v48
	v_sub_f16_e32 v48, v117, v115
	s_waitcnt vmcnt(1)
	v_mul_f16_sdwa v110, v98, v0 dst_sel:DWORD dst_unused:UNUSED_PAD src0_sel:DWORD src1_sel:WORD_1
	v_mul_f16_sdwa v111, v38, v0 dst_sel:DWORD dst_unused:UNUSED_PAD src0_sel:DWORD src1_sel:WORD_1
	;; [unrolled: 1-line block ×5, first 2 shown]
	s_waitcnt vmcnt(0)
	v_mul_f16_sdwa v118, v102, v33 dst_sel:DWORD dst_unused:UNUSED_PAD src0_sel:DWORD src1_sel:WORD_1
	v_mul_f16_sdwa v119, v45, v33 dst_sel:DWORD dst_unused:UNUSED_PAD src0_sel:DWORD src1_sel:WORD_1
	;; [unrolled: 1-line block ×7, first 2 shown]
	v_add_f16_e32 v122, v106, v104
	v_add_f16_e32 v123, v107, v105
	v_sub_f16_e32 v124, v106, v104
	v_sub_f16_e32 v125, v107, v105
	v_sub_f16_e32 v104, v104, v108
	v_sub_f16_e32 v105, v105, v109
	v_add_f16_e32 v126, v46, v44
	v_sub_f16_e32 v128, v46, v44
	v_sub_f16_e32 v129, v48, v47
	;; [unrolled: 1-line block ×3, first 2 shown]
	v_fma_f16 v38, v38, v0, -v110
	v_fmac_f16_e32 v111, v98, v0
	v_fma_f16 v42, v42, v1, -v112
	v_fmac_f16_e32 v113, v99, v1
	v_fmac_f16_e32 v117, v97, v3
	v_fma_f16 v45, v45, v33, -v118
	v_fmac_f16_e32 v119, v102, v33
	v_fma_f16 v97, v101, v34, -v120
	v_fmac_f16_e32 v121, v103, v34
	v_sub_f16_e32 v106, v108, v106
	v_sub_f16_e32 v107, v109, v107
	v_add_f16_e32 v127, v48, v47
	v_sub_f16_e32 v46, v41, v46
	v_sub_f16_e32 v48, v49, v48
	;; [unrolled: 1-line block ×3, first 2 shown]
	v_fma_f16 v43, v43, v2, -v114
	v_fmac_f16_e32 v115, v100, v2
	v_fma_f16 v39, v39, v3, -v116
	v_add_f16_e32 v98, v108, v122
	v_add_f16_e32 v99, v109, v123
	v_mul_f16_e32 v100, 0x3a52, v104
	v_mul_f16_e32 v101, 0x3a52, v105
	;; [unrolled: 1-line block ×5, first 2 shown]
	v_add_f16_e32 v110, v38, v97
	v_add_f16_e32 v112, v111, v121
	v_sub_f16_e32 v38, v38, v97
	v_sub_f16_e32 v97, v111, v121
	v_add_f16_e32 v111, v42, v45
	v_add_f16_e32 v114, v113, v119
	;; [unrolled: 1-line block ×3, first 2 shown]
	v_mul_f16_e32 v102, 0x2b26, v106
	v_mul_f16_e32 v103, 0x2b26, v107
	;; [unrolled: 1-line block ×3, first 2 shown]
	v_sub_f16_e32 v116, v42, v45
	v_sub_f16_e32 v113, v113, v119
	v_add_f16_e32 v118, v43, v39
	v_add_f16_e32 v119, v115, v117
	v_sub_f16_e32 v39, v39, v43
	v_sub_f16_e32 v115, v117, v115
	v_add_f16_e32 v117, v40, v98
	v_add_f16_sdwa v40, v40, v99 dst_sel:DWORD dst_unused:UNUSED_PAD src0_sel:WORD_1 src1_sel:DWORD
	v_fmamk_f16 v122, v46, 0x3574, v104
	v_fmamk_f16 v123, v48, 0x3574, v105
	v_fma_f16 v104, v44, 0x3b00, -v104
	v_fma_f16 v105, v47, 0x3b00, -v105
	;; [unrolled: 1-line block ×3, first 2 shown]
	v_add_f16_e32 v46, v111, v110
	v_add_f16_e32 v47, v114, v112
	;; [unrolled: 1-line block ×3, first 2 shown]
	v_fmamk_f16 v106, v106, 0x2b26, v100
	v_fmamk_f16 v107, v107, 0x2b26, v101
	v_fma_f16 v120, v124, 0x39e0, -v102
	v_fma_f16 v103, v125, 0x39e0, -v103
	;; [unrolled: 1-line block ×5, first 2 shown]
	v_sub_f16_e32 v42, v111, v110
	v_sub_f16_e32 v44, v114, v112
	v_sub_f16_e32 v48, v110, v118
	v_sub_f16_e32 v102, v112, v119
	v_sub_f16_e32 v43, v118, v111
	v_sub_f16_e32 v45, v119, v114
	v_add_f16_e32 v100, v39, v116
	v_add_f16_e32 v110, v115, v113
	v_sub_f16_e32 v111, v39, v116
	v_sub_f16_e32 v112, v115, v113
	;; [unrolled: 1-line block ×5, first 2 shown]
	v_fmamk_f16 v98, v98, 0xbcab, v117
	v_fmamk_f16 v116, v99, 0xbcab, v40
	v_fmac_f16_e32 v122, 0x370e, v41
	v_fmac_f16_e32 v104, 0x370e, v41
	;; [unrolled: 1-line block ×3, first 2 shown]
	v_pack_b32_f16 v117, v117, v40
	v_add_f16_e32 v40, v118, v46
	v_add_f16_e32 v41, v119, v47
	v_sub_f16_e32 v39, v38, v39
	v_fmac_f16_e32 v123, 0x370e, v49
	v_fmac_f16_e32 v105, 0x370e, v49
	;; [unrolled: 1-line block ×3, first 2 shown]
	v_add_f16_e32 v100, v100, v38
	v_add_f16_e32 v47, v110, v97
	v_mul_f16_e32 v38, 0x3a52, v48
	v_mul_f16_e32 v97, 0x3a52, v102
	;; [unrolled: 1-line block ×6, first 2 shown]
	v_add_f16_e32 v110, v120, v98
	v_add_f16_e32 v103, v103, v116
	;; [unrolled: 1-line block ×8, first 2 shown]
	v_fmamk_f16 v113, v43, 0x2b26, v38
	v_fmamk_f16 v115, v45, 0x2b26, v97
	v_fma_f16 v38, v42, 0xb9e0, -v38
	v_fma_f16 v116, v44, 0xb9e0, -v97
	v_fmamk_f16 v96, v39, 0x3574, v99
	v_fmamk_f16 v97, v114, 0x3574, v48
	v_fma_f16 v101, v39, 0xb574, -v102
	v_fma_f16 v98, v114, 0xb574, -v49
	v_add_f16_e32 v118, v109, v111
	v_sub_f16_e32 v119, v112, v108
	v_sub_f16_e32 v120, v110, v105
	v_add_f16_e32 v121, v104, v103
	v_add_f16_e32 v105, v105, v110
	v_sub_f16_e32 v110, v103, v104
	v_sub_f16_e32 v109, v111, v109
	v_add_f16_e32 v108, v108, v112
	v_fmamk_f16 v103, v40, 0xbcab, v37
	v_fmamk_f16 v104, v41, 0xbcab, v46
	v_add_f16_e32 v39, v123, v106
	v_sub_f16_e32 v114, v107, v122
	v_sub_f16_e32 v111, v106, v123
	v_add_f16_e32 v112, v122, v107
	v_fmac_f16_e32 v96, 0x370e, v100
	v_fmac_f16_e32 v97, 0x370e, v47
	;; [unrolled: 1-line block ×4, first 2 shown]
	v_pack_b32_f16 v110, v105, v110
	v_pack_b32_f16 v109, v109, v108
	v_add_f16_e32 v105, v38, v103
	v_add_f16_e32 v108, v116, v104
	;; [unrolled: 1-line block ×4, first 2 shown]
	v_pack_b32_f16 v114, v39, v114
	v_sub_f16_e32 v38, v105, v98
	v_add_f16_e32 v39, v101, v108
	v_sub_f16_e32 v40, v106, v97
	v_add_f16_e32 v41, v96, v107
	v_pack_b32_f16 v118, v118, v119
	v_pack_b32_f16 v119, v120, v121
	;; [unrolled: 1-line block ×3, first 2 shown]
	ds_write2_b32 v52, v117, v114 offset1:108
	ds_write2_b32 v80, v118, v119 offset0:88 offset1:196
	ds_write2_b32 v81, v110, v109 offset0:48 offset1:156
	ds_write_b32 v52, v111 offset:2592
	s_and_saveexec_b32 s0, vcc_lo
	s_cbranch_execz .LBB0_5
; %bb.4:
	v_mul_f16_e32 v45, 0x2b26, v45
	v_mul_f16_e32 v44, 0x39e0, v44
	;; [unrolled: 1-line block ×5, first 2 shown]
	v_sub_f16_e32 v81, v102, v99
	v_sub_f16_e32 v44, v44, v45
	v_mul_f16_e32 v45, 0x370e, v47
	v_sub_f16_e32 v48, v49, v48
	v_sub_f16_e32 v42, v42, v43
	v_add_f16_e32 v47, v80, v81
	v_add_f16_e32 v43, v44, v104
	;; [unrolled: 1-line block ×5, first 2 shown]
	v_sub_f16_e32 v48, v107, v96
	v_sub_f16_e32 v45, v43, v47
	v_add_f16_e32 v43, v47, v43
	v_sub_f16_e32 v47, v108, v101
	v_add_f16_e32 v80, v98, v105
	;; [unrolled: 2-line block ×3, first 2 shown]
	v_perm_b32 v37, v46, v37, 0x5040100
	v_pack_b32_f16 v44, v49, v48
	v_pack_b32_f16 v46, v80, v47
	;; [unrolled: 1-line block ×3, first 2 shown]
	v_add_nc_u32_e32 v47, 0x400, v52
	v_pack_b32_f16 v42, v42, v45
	v_perm_b32 v45, v39, v38, 0x5040100
	v_add_nc_u32_e32 v48, 0x600, v52
	v_perm_b32 v49, v41, v40, 0x5040100
	ds_write2_b32 v52, v37, v44 offset0:63 offset1:171
	ds_write2_b32 v47, v46, v43 offset0:23 offset1:131
	;; [unrolled: 1-line block ×3, first 2 shown]
	ds_write_b32 v52, v49 offset:2844
.LBB0_5:
	s_or_b32 exec_lo, exec_lo, s0
	v_lshlrev_b32_e32 v37, 2, v60
	s_waitcnt lgkmcnt(0)
	s_barrier
	buffer_gl0_inv
	v_add_co_u32 v37, s0, s12, v37
	v_add_co_ci_u32_e64 v45, null, s13, 0, s0
	v_add_co_u32 v42, s0, 0x800, v37
	v_add_co_ci_u32_e64 v43, s0, 0, v45, s0
	global_load_dword v46, v[42:43], off offset:976
	v_add_co_u32 v42, s0, 0xbd0, v37
	v_add_co_ci_u32_e64 v43, s0, 0, v45, s0
	v_add_co_u32 v44, s0, 0x1000, v37
	s_clause 0x3
	global_load_dword v98, v[42:43], off offset:252
	global_load_dword v100, v[42:43], off offset:1512
	;; [unrolled: 1-line block ×4, first 2 shown]
	v_add_co_ci_u32_e64 v45, s0, 0, v45, s0
	s_clause 0x6
	global_load_dword v103, v[42:43], off offset:2016
	global_load_dword v104, v[42:43], off offset:756
	;; [unrolled: 1-line block ×7, first 2 shown]
	ds_read2_b32 v[44:45], v52 offset1:63
	s_waitcnt lgkmcnt(0)
	v_lshrrev_b32_e32 v37, 16, v44
	v_lshrrev_b32_e32 v99, 16, v45
	s_waitcnt vmcnt(11)
	v_mul_f16_sdwa v42, v37, v46 dst_sel:DWORD dst_unused:UNUSED_PAD src0_sel:DWORD src1_sel:WORD_1
	v_mul_f16_sdwa v43, v44, v46 dst_sel:DWORD dst_unused:UNUSED_PAD src0_sel:DWORD src1_sel:WORD_1
	s_waitcnt vmcnt(10)
	v_mul_f16_sdwa v96, v99, v98 dst_sel:DWORD dst_unused:UNUSED_PAD src0_sel:DWORD src1_sel:WORD_1
	v_fma_f16 v42, v44, v46, -v42
	v_fmac_f16_e32 v43, v37, v46
	v_add_nc_u32_e32 v37, 0x400, v52
	v_mul_f16_sdwa v110, v45, v98 dst_sel:DWORD dst_unused:UNUSED_PAD src0_sel:DWORD src1_sel:WORD_1
	v_add_nc_u32_e32 v44, 0x800, v52
	v_fma_f16 v45, v45, v98, -v96
	v_pack_b32_f16 v42, v42, v43
	v_add_nc_u32_e32 v43, 0x200, v52
	v_fmac_f16_e32 v110, v99, v98
	ds_write_b32 v52, v42
	v_add_nc_u32_e32 v42, 0x600, v52
	ds_read2_b32 v[46:47], v37 offset0:122 offset1:185
	ds_read2_b32 v[48:49], v52 offset0:126 offset1:189
	;; [unrolled: 1-line block ×5, first 2 shown]
	v_pack_b32_f16 v45, v45, v110
	s_waitcnt lgkmcnt(4)
	v_lshrrev_b32_e32 v110, 16, v46
	s_waitcnt vmcnt(9)
	v_mul_f16_sdwa v111, v46, v100 dst_sel:DWORD dst_unused:UNUSED_PAD src0_sel:DWORD src1_sel:WORD_1
	v_lshrrev_b32_e32 v112, 16, v47
	s_waitcnt vmcnt(8)
	v_mul_f16_sdwa v113, v47, v101 dst_sel:DWORD dst_unused:UNUSED_PAD src0_sel:DWORD src1_sel:WORD_1
	s_waitcnt lgkmcnt(3)
	v_lshrrev_b32_e32 v114, 16, v48
	s_waitcnt vmcnt(7)
	v_mul_f16_sdwa v115, v48, v102 dst_sel:DWORD dst_unused:UNUSED_PAD src0_sel:DWORD src1_sel:WORD_1
	s_waitcnt lgkmcnt(0)
	v_lshrrev_b32_e32 v116, 16, v80
	s_waitcnt vmcnt(6)
	v_mul_f16_sdwa v117, v80, v103 dst_sel:DWORD dst_unused:UNUSED_PAD src0_sel:DWORD src1_sel:WORD_1
	v_lshrrev_b32_e32 v118, 16, v49
	s_waitcnt vmcnt(5)
	v_mul_f16_sdwa v119, v49, v104 dst_sel:DWORD dst_unused:UNUSED_PAD src0_sel:DWORD src1_sel:WORD_1
	;; [unrolled: 3-line block ×6, first 2 shown]
	v_lshrrev_b32_e32 v128, 16, v99
	v_mul_f16_sdwa v130, v110, v100 dst_sel:DWORD dst_unused:UNUSED_PAD src0_sel:DWORD src1_sel:WORD_1
	v_fmac_f16_e32 v111, v110, v100
	v_mul_f16_sdwa v110, v112, v101 dst_sel:DWORD dst_unused:UNUSED_PAD src0_sel:DWORD src1_sel:WORD_1
	v_fmac_f16_e32 v113, v112, v101
	;; [unrolled: 2-line block ×7, first 2 shown]
	v_mul_f16_sdwa v122, v124, v107 dst_sel:DWORD dst_unused:UNUSED_PAD src0_sel:DWORD src1_sel:WORD_1
	s_waitcnt vmcnt(0)
	v_mul_f16_sdwa v129, v99, v109 dst_sel:DWORD dst_unused:UNUSED_PAD src0_sel:DWORD src1_sel:WORD_1
	v_fmac_f16_e32 v125, v124, v107
	v_mul_f16_sdwa v124, v126, v108 dst_sel:DWORD dst_unused:UNUSED_PAD src0_sel:DWORD src1_sel:WORD_1
	v_fmac_f16_e32 v127, v126, v108
	v_mul_f16_sdwa v126, v128, v109 dst_sel:DWORD dst_unused:UNUSED_PAD src0_sel:DWORD src1_sel:WORD_1
	v_fma_f16 v48, v48, v102, -v112
	v_fma_f16 v47, v47, v101, -v110
	v_fma_f16 v80, v80, v103, -v114
	v_fma_f16 v49, v49, v104, -v116
	v_fma_f16 v96, v96, v106, -v120
	v_fma_f16 v81, v81, v105, -v118
	v_fma_f16 v98, v98, v107, -v122
	v_fmac_f16_e32 v129, v128, v109
	v_fma_f16 v46, v46, v100, -v130
	v_fma_f16 v97, v97, v108, -v124
	;; [unrolled: 1-line block ×3, first 2 shown]
	v_pack_b32_f16 v48, v48, v115
	v_pack_b32_f16 v47, v47, v113
	;; [unrolled: 1-line block ×10, first 2 shown]
	ds_write2_b32 v52, v45, v48 offset0:63 offset1:126
	ds_write2_b32 v37, v47, v80 offset0:185 offset1:248
	;; [unrolled: 1-line block ×5, first 2 shown]
	ds_write_b32 v52, v99 offset:2772
	s_waitcnt lgkmcnt(0)
	s_barrier
	buffer_gl0_inv
	ds_read2_b32 v[45:46], v52 offset1:63
	ds_read2_b32 v[47:48], v37 offset0:122 offset1:185
	ds_read2_b32 v[80:81], v52 offset0:126 offset1:189
	;; [unrolled: 1-line block ×5, first 2 shown]
	s_waitcnt lgkmcnt(0)
	s_barrier
	buffer_gl0_inv
	v_pk_add_f16 v49, v45, v47 neg_lo:[0,1] neg_hi:[0,1]
	v_pk_add_f16 v47, v46, v48 neg_lo:[0,1] neg_hi:[0,1]
	;; [unrolled: 1-line block ×6, first 2 shown]
	v_pk_fma_f16 v48, v45, 2.0, v49 op_sel_hi:[1,0,1] neg_lo:[0,0,1] neg_hi:[0,0,1]
	v_pk_fma_f16 v46, v46, 2.0, v47 op_sel_hi:[1,0,1] neg_lo:[0,0,1] neg_hi:[0,0,1]
	;; [unrolled: 1-line block ×6, first 2 shown]
	ds_write_b64 v67, v[48:49]
	ds_write_b64 v72, v[46:47]
	;; [unrolled: 1-line block ×6, first 2 shown]
	s_waitcnt lgkmcnt(0)
	s_barrier
	buffer_gl0_inv
	ds_read2_b32 v[45:46], v52 offset1:63
	ds_read2_b32 v[47:48], v37 offset0:122 offset1:185
	ds_read2_b32 v[71:72], v52 offset0:126 offset1:189
	;; [unrolled: 1-line block ×5, first 2 shown]
	s_waitcnt lgkmcnt(0)
	s_barrier
	buffer_gl0_inv
	v_lshrrev_b32_e32 v49, 16, v45
	v_lshrrev_b32_e32 v67, 16, v47
	;; [unrolled: 1-line block ×3, first 2 shown]
	v_mul_f16_sdwa v107, v64, v47 dst_sel:DWORD dst_unused:UNUSED_PAD src0_sel:WORD_1 src1_sel:DWORD
	v_lshrrev_b32_e32 v100, 16, v80
	v_mul_f16_sdwa v108, v65, v48 dst_sel:DWORD dst_unused:UNUSED_PAD src0_sel:WORD_1 src1_sel:DWORD
	v_lshrrev_b32_e32 v102, 16, v81
	v_lshrrev_b32_e32 v104, 16, v97
	;; [unrolled: 1-line block ×3, first 2 shown]
	v_mul_f16_sdwa v109, v64, v80 dst_sel:DWORD dst_unused:UNUSED_PAD src0_sel:WORD_1 src1_sel:DWORD
	v_mul_f16_sdwa v113, v64, v67 dst_sel:DWORD dst_unused:UNUSED_PAD src0_sel:WORD_1 src1_sel:DWORD
	v_fma_f16 v67, v64, v67, -v107
	v_mul_f16_sdwa v107, v65, v82 dst_sel:DWORD dst_unused:UNUSED_PAD src0_sel:WORD_1 src1_sel:DWORD
	v_fma_f16 v82, v69, v82, -v108
	v_mul_f16_sdwa v108, v64, v100 dst_sel:DWORD dst_unused:UNUSED_PAD src0_sel:WORD_1 src1_sel:DWORD
	v_mul_f16_e32 v110, v66, v81
	v_mul_f16_e32 v66, v66, v102
	v_mul_f16_sdwa v111, v64, v97 dst_sel:DWORD dst_unused:UNUSED_PAD src0_sel:WORD_1 src1_sel:DWORD
	v_mul_f16_e32 v112, v70, v98
	v_fma_f16 v100, v64, v100, -v109
	v_mul_f16_sdwa v109, v64, v104 dst_sel:DWORD dst_unused:UNUSED_PAD src0_sel:WORD_1 src1_sel:DWORD
	v_mul_f16_e32 v70, v70, v106
	v_fmac_f16_e32 v113, v64, v47
	v_lshrrev_b32_e32 v73, 16, v46
	v_fmac_f16_e32 v107, v69, v48
	v_lshrrev_b32_e32 v99, 16, v71
	;; [unrolled: 2-line block ×3, first 2 shown]
	v_fma_f16 v102, v68, v102, -v110
	v_fmac_f16_e32 v66, v68, v81
	v_lshrrev_b32_e32 v103, 16, v95
	v_lshrrev_b32_e32 v105, 16, v96
	v_fma_f16 v104, v64, v104, -v111
	v_fma_f16 v106, v65, v106, -v112
	v_fmac_f16_e32 v109, v64, v97
	v_fmac_f16_e32 v70, v65, v98
	v_sub_f16_e32 v47, v49, v67
	v_sub_f16_e32 v69, v45, v113
	;; [unrolled: 1-line block ×12, first 2 shown]
	v_fma_f16 v49, v49, 2.0, -v47
	v_fma_f16 v45, v45, 2.0, -v69
	;; [unrolled: 1-line block ×12, first 2 shown]
	v_pack_b32_f16 v47, v69, v47
	v_pack_b32_f16 v45, v45, v49
	;; [unrolled: 1-line block ×12, first 2 shown]
	ds_write2_b32 v74, v45, v47 offset1:2
	ds_write2_b32 v75, v46, v48 offset1:2
	;; [unrolled: 1-line block ×6, first 2 shown]
	s_waitcnt lgkmcnt(0)
	s_barrier
	buffer_gl0_inv
	ds_read2_b32 v[45:46], v52 offset1:63
	ds_read2_b32 v[47:48], v43 offset0:124 offset1:187
	ds_read2_b32 v[64:65], v42 offset0:120 offset1:183
	;; [unrolled: 1-line block ×5, first 2 shown]
	s_waitcnt lgkmcnt(0)
	s_barrier
	buffer_gl0_inv
	v_lshrrev_b32_e32 v49, 16, v45
	v_lshrrev_b32_e32 v72, 16, v47
	;; [unrolled: 1-line block ×3, first 2 shown]
	v_mul_f16_sdwa v95, v13, v47 dst_sel:DWORD dst_unused:UNUSED_PAD src0_sel:WORD_1 src1_sel:DWORD
	v_lshrrev_b32_e32 v75, 16, v48
	v_lshrrev_b32_e32 v76, 16, v65
	v_mul_f16_sdwa v96, v14, v64 dst_sel:DWORD dst_unused:UNUSED_PAD src0_sel:WORD_1 src1_sel:DWORD
	v_mul_f16_sdwa v97, v9, v48 dst_sel:DWORD dst_unused:UNUSED_PAD src0_sel:WORD_1 src1_sel:DWORD
	v_lshrrev_b32_e32 v78, 16, v68
	v_lshrrev_b32_e32 v79, 16, v70
	;; [unrolled: 1-line block ×4, first 2 shown]
	v_mul_f16_sdwa v98, v10, v65 dst_sel:DWORD dst_unused:UNUSED_PAD src0_sel:WORD_1 src1_sel:DWORD
	v_mul_f16_sdwa v99, v15, v68 dst_sel:DWORD dst_unused:UNUSED_PAD src0_sel:WORD_1 src1_sel:DWORD
	;; [unrolled: 1-line block ×6, first 2 shown]
	v_fma_f16 v72, v13, v72, -v95
	v_mul_f16_sdwa v95, v14, v73 dst_sel:DWORD dst_unused:UNUSED_PAD src0_sel:WORD_1 src1_sel:DWORD
	v_fma_f16 v73, v14, v73, -v96
	v_mul_f16_sdwa v96, v9, v75 dst_sel:DWORD dst_unused:UNUSED_PAD src0_sel:WORD_1 src1_sel:DWORD
	v_fma_f16 v75, v9, v75, -v97
	v_mul_f16_sdwa v97, v10, v76 dst_sel:DWORD dst_unused:UNUSED_PAD src0_sel:WORD_1 src1_sel:DWORD
	v_lshrrev_b32_e32 v74, 16, v46
	v_fma_f16 v76, v10, v76, -v98
	v_mul_f16_sdwa v98, v15, v78 dst_sel:DWORD dst_unused:UNUSED_PAD src0_sel:WORD_1 src1_sel:DWORD
	v_fma_f16 v78, v15, v78, -v99
	v_mul_f16_sdwa v99, v16, v79 dst_sel:DWORD dst_unused:UNUSED_PAD src0_sel:WORD_1 src1_sel:DWORD
	;; [unrolled: 2-line block ×4, first 2 shown]
	v_fma_f16 v82, v12, v82, -v102
	v_fmac_f16_e32 v103, v13, v47
	v_fmac_f16_e32 v95, v14, v64
	;; [unrolled: 1-line block ×8, first 2 shown]
	v_add_f16_e32 v10, v49, v72
	v_add_f16_e32 v13, v74, v75
	v_lshrrev_b32_e32 v77, 16, v66
	v_lshrrev_b32_e32 v80, 16, v67
	v_add_f16_e32 v11, v72, v73
	v_add_f16_e32 v14, v75, v76
	;; [unrolled: 1-line block ×5, first 2 shown]
	v_sub_f16_e32 v9, v72, v73
	v_sub_f16_e32 v12, v75, v76
	v_add_f16_e32 v47, v78, v79
	v_add_f16_e32 v10, v10, v73
	;; [unrolled: 1-line block ×8, first 2 shown]
	v_fmac_f16_e32 v49, -0.5, v11
	v_sub_f16_e32 v11, v103, v95
	v_add_f16_e32 v70, v46, v96
	v_fmac_f16_e32 v74, -0.5, v14
	v_sub_f16_e32 v14, v96, v97
	v_add_f16_e32 v72, v66, v98
	v_fmac_f16_e32 v80, -0.5, v65
	v_sub_f16_e32 v65, v100, v101
	v_fma_f16 v45, -0.5, v69, v45
	v_fmac_f16_e32 v46, -0.5, v71
	v_sub_f16_e32 v15, v78, v79
	v_sub_f16_e32 v48, v81, v82
	v_fmac_f16_e32 v77, -0.5, v47
	v_sub_f16_e32 v47, v98, v99
	v_add_f16_e32 v75, v67, v100
	v_fma_f16 v66, -0.5, v73, v66
	v_fmac_f16_e32 v67, -0.5, v76
	v_add_f16_e32 v16, v16, v79
	v_add_f16_e32 v68, v68, v95
	v_fmamk_f16 v69, v11, 0x3aee, v49
	v_fmac_f16_e32 v49, 0xbaee, v11
	v_add_f16_e32 v11, v70, v97
	v_fmamk_f16 v70, v14, 0x3aee, v74
	v_fmac_f16_e32 v74, 0xbaee, v14
	;; [unrolled: 3-line block ×3, first 2 shown]
	v_fmamk_f16 v65, v9, 0xbaee, v45
	v_fmac_f16_e32 v45, 0x3aee, v9
	v_fmamk_f16 v9, v12, 0xbaee, v46
	v_fmac_f16_e32 v46, 0x3aee, v12
	v_add_f16_e32 v64, v64, v82
	v_fmamk_f16 v71, v47, 0x3aee, v77
	v_fmac_f16_e32 v77, 0xbaee, v47
	v_add_f16_e32 v47, v75, v101
	v_fmamk_f16 v12, v15, 0xbaee, v66
	v_fmac_f16_e32 v66, 0x3aee, v15
	v_fmamk_f16 v15, v48, 0xbaee, v67
	v_fmac_f16_e32 v67, 0x3aee, v48
	v_pack_b32_f16 v10, v68, v10
	v_pack_b32_f16 v11, v11, v13
	v_pack_b32_f16 v13, v14, v16
	v_pack_b32_f16 v16, v65, v69
	v_pack_b32_f16 v45, v45, v49
	v_pack_b32_f16 v9, v9, v70
	v_pack_b32_f16 v46, v46, v74
	v_pack_b32_f16 v14, v47, v64
	v_pack_b32_f16 v12, v12, v71
	v_pack_b32_f16 v47, v66, v77
	v_pack_b32_f16 v15, v15, v72
	v_pack_b32_f16 v48, v67, v80
	ds_write2_b32 v83, v10, v16 offset1:4
	ds_write_b32 v83, v45 offset:32
	ds_write2_b32 v85, v11, v9 offset1:4
	ds_write_b32 v85, v46 offset:32
	;; [unrolled: 2-line block ×4, first 2 shown]
	s_waitcnt lgkmcnt(0)
	s_barrier
	buffer_gl0_inv
	ds_read2_b32 v[9:10], v52 offset1:63
	ds_read2_b32 v[11:12], v43 offset0:124 offset1:187
	ds_read2_b32 v[13:14], v42 offset0:120 offset1:183
	;; [unrolled: 1-line block ×5, first 2 shown]
	s_waitcnt lgkmcnt(0)
	s_barrier
	buffer_gl0_inv
	v_lshrrev_b32_e32 v49, 16, v9
	v_lshrrev_b32_e32 v64, 16, v11
	;; [unrolled: 1-line block ×3, first 2 shown]
	v_mul_f16_sdwa v75, v19, v11 dst_sel:DWORD dst_unused:UNUSED_PAD src0_sel:WORD_1 src1_sel:DWORD
	v_lshrrev_b32_e32 v67, 16, v12
	v_lshrrev_b32_e32 v68, 16, v14
	v_mul_f16_sdwa v76, v20, v13 dst_sel:DWORD dst_unused:UNUSED_PAD src0_sel:WORD_1 src1_sel:DWORD
	v_mul_f16_sdwa v77, v17, v12 dst_sel:DWORD dst_unused:UNUSED_PAD src0_sel:WORD_1 src1_sel:DWORD
	v_lshrrev_b32_e32 v70, 16, v45
	v_lshrrev_b32_e32 v71, 16, v47
	;; [unrolled: 1-line block ×4, first 2 shown]
	v_mul_f16_sdwa v78, v18, v14 dst_sel:DWORD dst_unused:UNUSED_PAD src0_sel:WORD_1 src1_sel:DWORD
	v_mul_f16_sdwa v79, v23, v45 dst_sel:DWORD dst_unused:UNUSED_PAD src0_sel:WORD_1 src1_sel:DWORD
	;; [unrolled: 1-line block ×6, first 2 shown]
	v_fma_f16 v64, v19, v64, -v75
	v_mul_f16_sdwa v75, v20, v65 dst_sel:DWORD dst_unused:UNUSED_PAD src0_sel:WORD_1 src1_sel:DWORD
	v_fma_f16 v65, v20, v65, -v76
	v_mul_f16_sdwa v76, v17, v67 dst_sel:DWORD dst_unused:UNUSED_PAD src0_sel:WORD_1 src1_sel:DWORD
	;; [unrolled: 2-line block ×3, first 2 shown]
	v_lshrrev_b32_e32 v66, 16, v10
	v_fma_f16 v68, v18, v68, -v78
	v_mul_f16_sdwa v78, v23, v70 dst_sel:DWORD dst_unused:UNUSED_PAD src0_sel:WORD_1 src1_sel:DWORD
	v_fma_f16 v70, v23, v70, -v79
	v_mul_f16_sdwa v79, v24, v71 dst_sel:DWORD dst_unused:UNUSED_PAD src0_sel:WORD_1 src1_sel:DWORD
	;; [unrolled: 2-line block ×4, first 2 shown]
	v_fma_f16 v74, v22, v74, -v82
	v_fmac_f16_e32 v83, v19, v11
	v_fmac_f16_e32 v75, v20, v13
	;; [unrolled: 1-line block ×8, first 2 shown]
	v_add_f16_e32 v12, v49, v64
	v_add_f16_e32 v17, v66, v67
	v_lshrrev_b32_e32 v69, 16, v15
	v_lshrrev_b32_e32 v72, 16, v16
	v_add_f16_e32 v13, v64, v65
	v_add_f16_e32 v18, v67, v68
	;; [unrolled: 1-line block ×5, first 2 shown]
	v_sub_f16_e32 v11, v64, v65
	v_sub_f16_e32 v14, v67, v68
	v_add_f16_e32 v21, v70, v71
	v_add_f16_e32 v12, v12, v65
	;; [unrolled: 1-line block ×8, first 2 shown]
	v_fmac_f16_e32 v49, -0.5, v13
	v_sub_f16_e32 v13, v83, v75
	v_add_f16_e32 v47, v10, v76
	v_fmac_f16_e32 v66, -0.5, v18
	v_sub_f16_e32 v18, v76, v77
	v_add_f16_e32 v64, v15, v78
	v_fmac_f16_e32 v72, -0.5, v24
	v_sub_f16_e32 v24, v80, v81
	v_fma_f16 v9, -0.5, v46, v9
	v_fmac_f16_e32 v10, -0.5, v48
	v_sub_f16_e32 v19, v70, v71
	v_sub_f16_e32 v22, v73, v74
	v_fmac_f16_e32 v69, -0.5, v21
	v_sub_f16_e32 v21, v78, v79
	v_add_f16_e32 v67, v16, v80
	v_fma_f16 v15, -0.5, v65, v15
	v_fmac_f16_e32 v16, -0.5, v68
	v_add_f16_e32 v20, v20, v71
	v_add_f16_e32 v45, v45, v75
	v_fmamk_f16 v46, v13, 0x3aee, v49
	v_fmac_f16_e32 v49, 0xbaee, v13
	v_add_f16_e32 v13, v47, v77
	v_fmamk_f16 v47, v18, 0x3aee, v66
	v_fmac_f16_e32 v66, 0xbaee, v18
	;; [unrolled: 3-line block ×3, first 2 shown]
	v_fmamk_f16 v24, v11, 0xbaee, v9
	v_fmac_f16_e32 v9, 0x3aee, v11
	v_fmamk_f16 v11, v14, 0xbaee, v10
	v_fmac_f16_e32 v10, 0x3aee, v14
	v_add_f16_e32 v23, v23, v74
	v_fmamk_f16 v48, v21, 0x3aee, v69
	v_fmac_f16_e32 v69, 0xbaee, v21
	v_add_f16_e32 v21, v67, v81
	v_fmamk_f16 v14, v19, 0xbaee, v15
	v_fmac_f16_e32 v15, 0x3aee, v19
	v_fmamk_f16 v19, v22, 0xbaee, v16
	v_fmac_f16_e32 v16, 0x3aee, v22
	v_pack_b32_f16 v12, v45, v12
	v_pack_b32_f16 v13, v13, v17
	;; [unrolled: 1-line block ×12, first 2 shown]
	ds_write2_b32 v87, v12, v20 offset1:12
	ds_write_b32 v87, v9 offset:96
	ds_write2_b32 v90, v13, v11 offset1:12
	ds_write_b32 v90, v10 offset:96
	;; [unrolled: 2-line block ×4, first 2 shown]
	s_waitcnt lgkmcnt(0)
	s_barrier
	buffer_gl0_inv
	ds_read2_b32 v[14:15], v52 offset1:63
	ds_read2_b32 v[11:12], v43 offset0:124 offset1:187
	ds_read2_b32 v[16:17], v42 offset0:120 offset1:183
	ds_read2_b32 v[9:10], v52 offset0:126 offset1:189
	ds_read2_b32 v[18:19], v37 offset0:122 offset1:185
	ds_read2_b32 v[23:24], v44 offset0:118 offset1:181
	s_waitcnt lgkmcnt(0)
	s_barrier
	buffer_gl0_inv
	v_lshrrev_b32_e32 v20, 16, v14
	v_lshrrev_b32_e32 v13, 16, v11
	;; [unrolled: 1-line block ×3, first 2 shown]
	v_mul_f16_sdwa v66, v27, v11 dst_sel:DWORD dst_unused:UNUSED_PAD src0_sel:WORD_1 src1_sel:DWORD
	v_lshrrev_b32_e32 v46, 16, v12
	v_lshrrev_b32_e32 v47, 16, v17
	v_mul_f16_sdwa v67, v28, v16 dst_sel:DWORD dst_unused:UNUSED_PAD src0_sel:WORD_1 src1_sel:DWORD
	v_mul_f16_sdwa v68, v25, v12 dst_sel:DWORD dst_unused:UNUSED_PAD src0_sel:WORD_1 src1_sel:DWORD
	v_lshrrev_b32_e32 v48, 16, v18
	v_lshrrev_b32_e32 v49, 16, v23
	v_mul_f16_sdwa v69, v26, v17 dst_sel:DWORD dst_unused:UNUSED_PAD src0_sel:WORD_1 src1_sel:DWORD
	;; [unrolled: 4-line block ×3, first 2 shown]
	v_mul_f16_sdwa v72, v29, v19 dst_sel:DWORD dst_unused:UNUSED_PAD src0_sel:WORD_1 src1_sel:DWORD
	v_mul_f16_sdwa v73, v30, v24 dst_sel:DWORD dst_unused:UNUSED_PAD src0_sel:WORD_1 src1_sel:DWORD
	;; [unrolled: 1-line block ×3, first 2 shown]
	v_fma_f16 v13, v27, v13, -v66
	v_mul_f16_sdwa v66, v28, v44 dst_sel:DWORD dst_unused:UNUSED_PAD src0_sel:WORD_1 src1_sel:DWORD
	v_fma_f16 v44, v28, v44, -v67
	v_mul_f16_sdwa v67, v25, v46 dst_sel:DWORD dst_unused:UNUSED_PAD src0_sel:WORD_1 src1_sel:DWORD
	;; [unrolled: 2-line block ×5, first 2 shown]
	v_lshrrev_b32_e32 v22, 16, v9
	v_lshrrev_b32_e32 v21, 16, v10
	v_fma_f16 v49, v32, v49, -v71
	v_mul_f16_sdwa v71, v29, v64 dst_sel:DWORD dst_unused:UNUSED_PAD src0_sel:WORD_1 src1_sel:DWORD
	v_fma_f16 v64, v29, v64, -v72
	v_mul_f16_sdwa v72, v30, v65 dst_sel:DWORD dst_unused:UNUSED_PAD src0_sel:WORD_1 src1_sel:DWORD
	v_fma_f16 v65, v30, v65, -v73
	v_fmac_f16_e32 v74, v27, v11
	v_fmac_f16_e32 v66, v28, v16
	;; [unrolled: 1-line block ×4, first 2 shown]
	v_lshrrev_b32_e32 v45, 16, v15
	v_fmac_f16_e32 v69, v31, v18
	v_fmac_f16_e32 v70, v32, v23
	v_sub_f16_e32 v11, v13, v44
	v_add_f16_e32 v12, v20, v13
	v_add_f16_e32 v13, v13, v44
	v_fmac_f16_e32 v71, v29, v19
	v_fmac_f16_e32 v72, v30, v24
	v_add_f16_e32 v23, v22, v48
	v_add_f16_e32 v24, v48, v49
	;; [unrolled: 1-line block ×10, first 2 shown]
	v_fmac_f16_e32 v20, -0.5, v13
	v_sub_f16_e32 v12, v74, v66
	v_add_f16_e32 v44, v69, v70
	v_sub_f16_e32 v16, v46, v47
	v_sub_f16_e32 v19, v48, v49
	v_add_f16_e32 v46, v23, v49
	v_fmac_f16_e32 v22, -0.5, v24
	v_sub_f16_e32 v24, v69, v70
	v_add_f16_e32 v48, v71, v72
	v_add_f16_e32 v23, v26, v65
	v_fmac_f16_e32 v21, -0.5, v27
	v_sub_f16_e32 v26, v71, v72
	v_add_f16_e32 v27, v28, v66
	v_fma_f16 v28, -0.5, v29, v14
	v_add_f16_e32 v13, v15, v67
	v_fmac_f16_e32 v45, -0.5, v18
	v_sub_f16_e32 v18, v67, v68
	v_add_f16_e32 v32, v9, v69
	v_fmac_f16_e32 v15, -0.5, v31
	v_add_f16_e32 v17, v17, v47
	v_add_f16_e32 v47, v10, v71
	v_fmamk_f16 v29, v12, 0x3aee, v20
	v_fmac_f16_e32 v20, 0xbaee, v12
	v_fma_f16 v12, -0.5, v44, v9
	v_sub_f16_e32 v25, v64, v65
	v_fmamk_f16 v9, v24, 0x3aee, v22
	v_fmac_f16_e32 v22, 0xbaee, v24
	v_fmac_f16_e32 v10, -0.5, v48
	v_fmamk_f16 v24, v26, 0x3aee, v21
	v_fmac_f16_e32 v21, 0xbaee, v26
	v_fmamk_f16 v26, v11, 0xbaee, v28
	v_fmac_f16_e32 v28, 0x3aee, v11
	v_add_f16_e32 v49, v13, v68
	v_fmamk_f16 v31, v18, 0x3aee, v45
	v_fmac_f16_e32 v45, 0xbaee, v18
	v_add_f16_e32 v18, v32, v70
	;; [unrolled: 3-line block ×3, first 2 shown]
	v_fmamk_f16 v11, v19, 0xbaee, v12
	v_fmac_f16_e32 v12, 0x3aee, v19
	v_fmamk_f16 v14, v25, 0xbaee, v10
	v_fmac_f16_e32 v10, 0x3aee, v25
	v_pack_b32_f16 v16, v27, v30
	v_pack_b32_f16 v25, v26, v29
	;; [unrolled: 1-line block ×12, first 2 shown]
	ds_write2_b32 v94, v16, v25 offset1:36
	ds_write_b32 v94, v20 offset:288
	ds_write2_b32 v93, v17, v26 offset1:36
	ds_write_b32 v93, v15 offset:288
	;; [unrolled: 2-line block ×4, first 2 shown]
	s_waitcnt lgkmcnt(0)
	s_barrier
	buffer_gl0_inv
	ds_read2_b32 v[15:16], v52 offset1:108
	ds_read2_b32 v[19:20], v43 offset0:88 offset1:196
	ds_read2_b32 v[17:18], v42 offset0:48 offset1:156
	ds_read_b32 v25, v52 offset:2592
	s_and_saveexec_b32 s0, vcc_lo
	s_cbranch_execz .LBB0_7
; %bb.6:
	ds_read2_b32 v[11:12], v52 offset0:63 offset1:171
	ds_read2_b32 v[13:14], v37 offset0:23 offset1:131
	;; [unrolled: 1-line block ×3, first 2 shown]
	ds_read_b32 v40, v52 offset:2844
	s_waitcnt lgkmcnt(3)
	v_lshrrev_b32_e32 v9, 16, v11
	v_lshrrev_b32_e32 v22, 16, v12
	s_waitcnt lgkmcnt(2)
	v_lshrrev_b32_e32 v23, 16, v13
	v_lshrrev_b32_e32 v24, 16, v14
	;; [unrolled: 3-line block ×3, first 2 shown]
	s_waitcnt lgkmcnt(0)
	v_lshrrev_b32_e32 v41, 16, v40
	v_mov_b32_e32 v10, v37
.LBB0_7:
	s_or_b32 exec_lo, exec_lo, s0
	s_waitcnt lgkmcnt(3)
	v_lshrrev_b32_e32 v26, 16, v16
	s_waitcnt lgkmcnt(2)
	v_lshrrev_b32_e32 v27, 16, v19
	v_lshrrev_b32_e32 v28, 16, v20
	v_mul_f16_sdwa v29, v4, v16 dst_sel:DWORD dst_unused:UNUSED_PAD src0_sel:WORD_1 src1_sel:DWORD
	s_waitcnt lgkmcnt(1)
	v_lshrrev_b32_e32 v30, 16, v17
	v_mul_f16_sdwa v31, v4, v26 dst_sel:DWORD dst_unused:UNUSED_PAD src0_sel:WORD_1 src1_sel:DWORD
	v_lshrrev_b32_e32 v32, 16, v18
	s_waitcnt lgkmcnt(0)
	v_lshrrev_b32_e32 v37, 16, v25
	v_fma_f16 v26, v4, v26, -v29
	v_mul_f16_sdwa v29, v5, v27 dst_sel:DWORD dst_unused:UNUSED_PAD src0_sel:WORD_1 src1_sel:DWORD
	v_fmac_f16_e32 v31, v4, v16
	v_mul_f16_sdwa v4, v5, v19 dst_sel:DWORD dst_unused:UNUSED_PAD src0_sel:WORD_1 src1_sel:DWORD
	v_mul_f16_sdwa v16, v6, v28 dst_sel:DWORD dst_unused:UNUSED_PAD src0_sel:WORD_1 src1_sel:DWORD
	;; [unrolled: 1-line block ×4, first 2 shown]
	v_fmac_f16_e32 v29, v5, v19
	v_fma_f16 v4, v5, v27, -v4
	v_fmac_f16_e32 v16, v6, v20
	v_fma_f16 v5, v6, v28, -v44
	v_fmac_f16_e32 v45, v7, v17
	v_mul_f16_sdwa v6, v36, v37 dst_sel:DWORD dst_unused:UNUSED_PAD src0_sel:WORD_1 src1_sel:DWORD
	v_mul_f16_sdwa v19, v36, v25 dst_sel:DWORD dst_unused:UNUSED_PAD src0_sel:WORD_1 src1_sel:DWORD
	;; [unrolled: 1-line block ×5, first 2 shown]
	v_fmac_f16_e32 v6, v36, v25
	v_fma_f16 v19, v36, v37, -v19
	v_fma_f16 v7, v7, v30, -v17
	v_fmac_f16_e32 v20, v35, v18
	v_fma_f16 v17, v35, v32, -v27
	v_add_f16_e32 v18, v31, v6
	v_add_f16_e32 v25, v26, v19
	v_sub_f16_e32 v19, v26, v19
	v_add_f16_e32 v26, v29, v20
	v_add_f16_e32 v27, v4, v17
	v_sub_f16_e32 v20, v29, v20
	v_sub_f16_e32 v4, v4, v17
	v_add_f16_e32 v17, v16, v45
	v_add_f16_e32 v28, v5, v7
	v_sub_f16_e32 v16, v45, v16
	;; [unrolled: 4-line block ×3, first 2 shown]
	v_sub_f16_e32 v30, v26, v18
	v_sub_f16_e32 v31, v27, v25
	;; [unrolled: 1-line block ×6, first 2 shown]
	v_add_f16_e32 v32, v16, v20
	v_add_f16_e32 v35, v5, v4
	v_sub_f16_e32 v36, v16, v20
	v_sub_f16_e32 v37, v5, v4
	v_add_f16_e32 v7, v17, v7
	v_add_f16_e32 v17, v28, v29
	v_sub_f16_e32 v20, v20, v6
	v_sub_f16_e32 v4, v4, v19
	;; [unrolled: 1-line block ×4, first 2 shown]
	v_add_f16_e32 v6, v32, v6
	v_add_f16_e32 v19, v35, v19
	;; [unrolled: 1-line block ×3, first 2 shown]
	v_add_f16_sdwa v15, v15, v17 dst_sel:DWORD dst_unused:UNUSED_PAD src0_sel:WORD_1 src1_sel:DWORD
	v_mul_f16_e32 v18, 0x3a52, v18
	v_mul_f16_e32 v25, 0x3a52, v25
	;; [unrolled: 1-line block ×8, first 2 shown]
	v_fmamk_f16 v7, v7, 0xbcab, v28
	v_fmamk_f16 v17, v17, 0xbcab, v15
	;; [unrolled: 1-line block ×4, first 2 shown]
	v_fma_f16 v29, v30, 0x39e0, -v29
	v_fma_f16 v32, v31, 0x39e0, -v32
	;; [unrolled: 1-line block ×4, first 2 shown]
	v_fmamk_f16 v30, v16, 0xb574, v35
	v_fmamk_f16 v31, v5, 0xb574, v36
	v_fma_f16 v20, v20, 0xbb00, -v35
	v_fma_f16 v4, v4, 0xbb00, -v36
	;; [unrolled: 1-line block ×4, first 2 shown]
	v_add_f16_e32 v26, v26, v7
	v_add_f16_e32 v27, v27, v17
	v_fmac_f16_e32 v30, 0xb70e, v6
	v_fmac_f16_e32 v31, 0xb70e, v19
	v_add_f16_e32 v29, v29, v7
	v_add_f16_e32 v32, v32, v17
	;; [unrolled: 1-line block ×4, first 2 shown]
	v_fmac_f16_e32 v20, 0xb70e, v6
	v_fmac_f16_e32 v5, 0xb70e, v19
	;; [unrolled: 1-line block ×4, first 2 shown]
	v_add_f16_e32 v6, v31, v26
	v_sub_f16_e32 v18, v27, v30
	v_add_f16_e32 v19, v5, v7
	v_sub_f16_e32 v25, v17, v16
	v_sub_f16_e32 v35, v29, v4
	v_add_f16_e32 v36, v20, v32
	v_add_f16_e32 v4, v4, v29
	v_sub_f16_e32 v20, v32, v20
	v_sub_f16_e32 v5, v7, v5
	v_add_f16_e32 v7, v16, v17
	v_sub_f16_e32 v16, v26, v31
	v_add_f16_e32 v17, v30, v27
	v_pack_b32_f16 v15, v28, v15
	v_pack_b32_f16 v6, v6, v18
	;; [unrolled: 1-line block ×7, first 2 shown]
	ds_write2_b32 v52, v15, v6 offset1:108
	ds_write2_b32 v43, v18, v19 offset0:88 offset1:196
	ds_write2_b32 v42, v4, v5 offset0:48 offset1:156
	ds_write_b32 v52, v7 offset:2592
	s_and_saveexec_b32 s0, vcc_lo
	s_cbranch_execz .LBB0_9
; %bb.8:
	v_mul_f16_sdwa v6, v0, v22 dst_sel:DWORD dst_unused:UNUSED_PAD src0_sel:WORD_1 src1_sel:DWORD
	v_mul_f16_sdwa v4, v3, v21 dst_sel:DWORD dst_unused:UNUSED_PAD src0_sel:WORD_1 src1_sel:DWORD
	;; [unrolled: 1-line block ×5, first 2 shown]
	v_fmac_f16_e32 v6, v0, v12
	v_mul_f16_sdwa v12, v0, v12 dst_sel:DWORD dst_unused:UNUSED_PAD src0_sel:WORD_1 src1_sel:DWORD
	v_fmac_f16_e32 v4, v3, v10
	v_fmac_f16_e32 v15, v1, v13
	v_mul_f16_sdwa v19, v33, v38 dst_sel:DWORD dst_unused:UNUSED_PAD src0_sel:WORD_1 src1_sel:DWORD
	v_mul_f16_sdwa v13, v1, v13 dst_sel:DWORD dst_unused:UNUSED_PAD src0_sel:WORD_1 src1_sel:DWORD
	v_fma_f16 v0, v0, v22, -v12
	v_mul_f16_sdwa v12, v2, v14 dst_sel:DWORD dst_unused:UNUSED_PAD src0_sel:WORD_1 src1_sel:DWORD
	v_mul_f16_sdwa v10, v3, v10 dst_sel:DWORD dst_unused:UNUSED_PAD src0_sel:WORD_1 src1_sel:DWORD
	v_fmac_f16_e32 v5, v2, v14
	v_fma_f16 v16, v34, v41, -v16
	v_fma_f16 v14, v33, v39, -v19
	;; [unrolled: 1-line block ×5, first 2 shown]
	v_mul_f16_sdwa v7, v34, v41 dst_sel:DWORD dst_unused:UNUSED_PAD src0_sel:WORD_1 src1_sel:DWORD
	v_mul_f16_sdwa v18, v33, v39 dst_sel:DWORD dst_unused:UNUSED_PAD src0_sel:WORD_1 src1_sel:DWORD
	v_add_f16_e32 v10, v16, v0
	v_add_f16_e32 v12, v14, v1
	;; [unrolled: 1-line block ×3, first 2 shown]
	v_fmac_f16_e32 v7, v34, v40
	v_fmac_f16_e32 v18, v33, v38
	v_sub_f16_e32 v17, v4, v5
	v_add_f16_e32 v21, v12, v10
	v_sub_f16_e32 v23, v10, v19
	v_sub_f16_e32 v20, v6, v7
	v_add_f16_e32 v6, v7, v6
	v_add_f16_e32 v7, v18, v15
	;; [unrolled: 1-line block ×3, first 2 shown]
	v_mul_f16_e32 v23, 0x3a52, v23
	v_sub_f16_e32 v19, v19, v12
	v_add_f16_e32 v4, v4, v5
	v_sub_f16_e32 v2, v3, v2
	v_sub_f16_e32 v1, v1, v14
	;; [unrolled: 1-line block ×4, first 2 shown]
	v_add_f16_e32 v18, v7, v6
	v_fmamk_f16 v26, v19, 0x2b26, v23
	v_mul_f16_e32 v15, 0x2b26, v19
	v_sub_f16_e32 v3, v6, v4
	v_sub_f16_e32 v16, v2, v1
	;; [unrolled: 1-line block ×3, first 2 shown]
	v_add_f16_e32 v2, v2, v1
	v_sub_f16_e32 v22, v17, v13
	v_add_f16_e32 v9, v9, v21
	v_add_f16_e32 v18, v4, v18
	v_sub_f16_e32 v24, v20, v17
	v_add_f16_e32 v17, v17, v13
	v_mul_f16_e32 v3, 0x3a52, v3
	v_sub_f16_e32 v4, v4, v7
	v_sub_f16_e32 v13, v13, v20
	v_add_f16_e32 v2, v2, v0
	v_sub_f16_e32 v0, v1, v0
	v_mul_f16_e32 v22, 0x3846, v22
	v_fmamk_f16 v21, v21, 0xbcab, v9
	v_add_f16_e32 v11, v11, v18
	v_mul_f16_e32 v16, 0x3846, v16
	v_sub_f16_e32 v10, v12, v10
	v_add_f16_e32 v17, v17, v20
	v_fmamk_f16 v20, v4, 0x2b26, v3
	v_mul_f16_e32 v27, 0xbb00, v13
	v_mul_f16_e32 v4, 0x2b26, v4
	v_sub_f16_e32 v6, v7, v6
	v_mul_f16_e32 v7, 0xbb00, v0
	v_fmamk_f16 v25, v24, 0xb574, v22
	v_add_f16_e32 v5, v26, v21
	v_fmamk_f16 v18, v18, 0xbcab, v11
	v_fmamk_f16 v26, v19, 0xb574, v16
	v_fma_f16 v23, v10, 0xb9e0, -v23
	v_fma_f16 v10, v10, 0x39e0, -v15
	;; [unrolled: 1-line block ×8, first 2 shown]
	v_fmac_f16_e32 v25, 0xb70e, v17
	v_add_f16_e32 v20, v20, v18
	v_fmac_f16_e32 v26, 0xb70e, v2
	v_add_f16_e32 v10, v10, v21
	v_fmac_f16_e32 v13, 0xb70e, v17
	v_fmac_f16_e32 v1, 0xb70e, v17
	v_add_f16_e32 v15, v23, v21
	v_add_f16_e32 v3, v3, v18
	v_fmac_f16_e32 v7, 0xb70e, v2
	v_fmac_f16_e32 v0, 0xb70e, v2
	v_add_f16_e32 v2, v4, v18
	v_add_f16_e32 v14, v25, v5
	v_sub_f16_e32 v17, v10, v13
	v_add_f16_e32 v4, v13, v10
	v_sub_f16_e32 v5, v5, v25
	v_add_f16_e32 v10, v26, v20
	v_add_f16_e32 v6, v1, v15
	v_sub_f16_e32 v16, v3, v7
	v_sub_f16_e32 v1, v15, v1
	v_add_f16_e32 v3, v7, v3
	v_sub_f16_e32 v7, v2, v0
	v_add_f16_e32 v0, v0, v2
	v_sub_f16_e32 v12, v20, v26
	v_pack_b32_f16 v2, v11, v9
	v_pack_b32_f16 v5, v10, v5
	;; [unrolled: 1-line block ×4, first 2 shown]
	v_add_nc_u32_e32 v4, 0x400, v52
	v_pack_b32_f16 v0, v0, v17
	v_pack_b32_f16 v6, v16, v6
	v_add_nc_u32_e32 v7, 0x600, v52
	v_pack_b32_f16 v9, v12, v14
	ds_write2_b32 v52, v2, v5 offset0:63 offset1:171
	ds_write2_b32 v4, v1, v3 offset0:23 offset1:131
	;; [unrolled: 1-line block ×3, first 2 shown]
	ds_write_b32 v52, v9 offset:2844
.LBB0_9:
	s_or_b32 exec_lo, exec_lo, s0
	s_waitcnt lgkmcnt(0)
	s_barrier
	buffer_gl0_inv
	ds_read2_b32 v[0:1], v52 offset1:63
	v_add_nc_u32_e32 v2, 0x400, v52
	v_mad_u64_u32 v[9:10], null, s8, v60, 0
	s_mov_b32 s4, 0x6b015ac0
	s_mov_b32 s5, 0x3f55ac05
	ds_read2_b32 v[2:3], v2 offset0:122 offset1:185
	s_mul_i32 s7, s8, 0xfffffb14
	s_waitcnt lgkmcnt(1)
	v_lshrrev_b32_e32 v4, 16, v0
	v_mul_f16_sdwa v5, v63, v0 dst_sel:DWORD dst_unused:UNUSED_PAD src0_sel:WORD_1 src1_sel:DWORD
	v_lshrrev_b32_e32 v21, 16, v1
	v_mul_f16_sdwa v6, v63, v4 dst_sel:DWORD dst_unused:UNUSED_PAD src0_sel:WORD_1 src1_sel:DWORD
	v_fma_f16 v4, v63, v4, -v5
	s_waitcnt lgkmcnt(0)
	v_lshrrev_b32_e32 v13, 16, v2
	v_mul_f16_sdwa v7, v61, v2 dst_sel:DWORD dst_unused:UNUSED_PAD src0_sel:WORD_1 src1_sel:DWORD
	v_mul_f16_sdwa v15, v62, v21 dst_sel:DWORD dst_unused:UNUSED_PAD src0_sel:WORD_1 src1_sel:DWORD
	v_fmac_f16_e32 v6, v63, v0
	v_cvt_f32_f16_e32 v0, v4
	v_mad_u64_u32 v[4:5], null, s10, v8, 0
	v_fma_f16 v14, v61, v13, -v7
	v_cvt_f32_f16_e32 v11, v6
	v_cvt_f64_f32_e32 v[6:7], v0
	v_mul_f16_sdwa v16, v61, v13 dst_sel:DWORD dst_unused:UNUSED_PAD src0_sel:WORD_1 src1_sel:DWORD
	v_fmac_f16_e32 v15, v62, v1
	v_cvt_f32_f16_e32 v13, v14
	v_cvt_f64_f32_e32 v[11:12], v11
	v_mov_b32_e32 v0, v5
	v_fmac_f16_e32 v16, v61, v2
	v_mov_b32_e32 v2, v10
	v_cvt_f64_f32_e32 v[13:14], v13
	v_cvt_f32_f16_e32 v5, v15
	v_cvt_f32_f16_e32 v10, v16
	v_mad_u64_u32 v[15:16], null, s11, v8, v[0:1]
	v_mad_u64_u32 v[16:17], null, s9, v60, v[2:3]
	v_cvt_f64_f32_e32 v[19:20], v10
	v_mul_f16_sdwa v2, v62, v1 dst_sel:DWORD dst_unused:UNUSED_PAD src0_sel:WORD_1 src1_sel:DWORD
	v_cvt_f64_f32_e32 v[17:18], v5
	v_mov_b32_e32 v5, v15
	v_mul_f64 v[6:7], v[6:7], s[4:5]
	v_fma_f16 v2, v62, v21, -v2
	v_mov_b32_e32 v10, v16
	v_lshlrev_b64 v[4:5], 2, v[4:5]
	v_mul_f64 v[0:1], v[11:12], s[4:5]
	v_cvt_f32_f16_e32 v2, v2
	v_lshlrev_b64 v[8:9], 2, v[9:10]
	v_mul_f64 v[11:12], v[13:14], s[4:5]
	v_add_co_u32 v10, vcc_lo, s2, v4
	v_add_co_ci_u32_e32 v21, vcc_lo, s3, v5, vcc_lo
	v_cvt_f64_f32_e32 v[4:5], v2
	s_mul_i32 s3, s8, 0x5e8
	v_mul_f64 v[15:16], v[19:20], s[4:5]
	v_mul_f64 v[13:14], v[17:18], s[4:5]
	v_and_or_b32 v2, 0x1ff, v7, v6
	v_lshrrev_b32_e32 v6, 8, v7
	v_bfe_u32 v17, v7, 20, 11
	v_lshrrev_b32_e32 v7, 16, v7
	v_and_or_b32 v0, 0x1ff, v1, v0
	v_cmp_ne_u32_e32 vcc_lo, 0, v2
	v_lshrrev_b32_e32 v18, 8, v1
	v_bfe_u32 v19, v1, 20, 11
	v_and_or_b32 v11, 0x1ff, v12, v11
	v_bfe_u32 v23, v12, 20, 11
	v_cndmask_b32_e64 v2, 0, 1, vcc_lo
	v_cmp_ne_u32_e32 vcc_lo, 0, v0
	v_sub_nc_u32_e32 v24, 0x3f1, v19
	v_sub_nc_u32_e32 v20, 0x3f1, v17
	v_add_nc_u32_e32 v17, 0xfffffc10, v17
	v_and_or_b32 v2, 0xffe, v6, v2
	v_cndmask_b32_e64 v0, 0, 1, vcc_lo
	v_cmp_ne_u32_e32 vcc_lo, 0, v11
	v_lshrrev_b32_e32 v22, 8, v12
	v_and_or_b32 v15, 0x1ff, v16, v15
	v_sub_nc_u32_e32 v26, 0x3f1, v23
	v_and_or_b32 v0, 0xffe, v18, v0
	v_cndmask_b32_e64 v11, 0, 1, vcc_lo
	v_med3_i32 v18, v24, 0, 13
	v_cmp_ne_u32_e32 vcc_lo, 0, v2
	v_med3_i32 v6, v20, 0, 13
	v_or_b32_e32 v28, 0x1000, v0
	v_or_b32_e32 v24, 0x1000, v2
	v_lshl_or_b32 v27, v17, 12, v2
	v_cndmask_b32_e64 v2, 0, 1, vcc_lo
	v_cmp_ne_u32_e32 vcc_lo, 0, v15
	v_and_or_b32 v11, 0xffe, v22, v11
	v_med3_i32 v22, v26, 0, 13
	v_lshrrev_b32_e32 v26, v18, v28
	v_add_nc_u32_e32 v19, 0xfffffc10, v19
	v_cndmask_b32_e64 v15, 0, 1, vcc_lo
	v_lshrrev_b32_e32 v31, v6, v24
	v_cmp_ne_u32_e32 vcc_lo, 0, v0
	v_lshlrev_b32_e32 v18, v18, v26
	v_lshrrev_b32_e32 v20, 8, v16
	v_bfe_u32 v25, v16, 20, 11
	v_lshl_or_b32 v30, v19, 12, v0
	v_cndmask_b32_e64 v0, 0, 1, vcc_lo
	v_lshlrev_b32_e32 v6, v6, v31
	v_cmp_ne_u32_e32 vcc_lo, v18, v28
	v_sub_nc_u32_e32 v29, 0x3f1, v25
	v_and_or_b32 v15, 0xffe, v20, v15
	v_add_nc_u32_e32 v25, 0xfffffc10, v25
	v_lshl_or_b32 v0, v0, 9, 0x7c00
	v_cndmask_b32_e64 v18, 0, 1, vcc_lo
	v_cmp_ne_u32_e32 vcc_lo, v6, v24
	v_med3_i32 v20, v29, 0, 13
	v_or_b32_e32 v24, 0x1000, v15
	v_or_b32_e32 v28, 0x1000, v11
	;; [unrolled: 1-line block ×3, first 2 shown]
	v_cndmask_b32_e64 v6, 0, 1, vcc_lo
	v_cmp_gt_i32_e32 vcc_lo, 1, v19
	v_lshrrev_b32_e32 v26, v20, v24
	v_lshrrev_b32_e32 v1, 16, v1
	v_lshl_or_b32 v2, v2, 9, 0x7c00
	v_or_b32_e32 v6, v31, v6
	v_cndmask_b32_e32 v18, v30, v18, vcc_lo
	v_cmp_gt_i32_e32 vcc_lo, 1, v17
	v_lshlrev_b32_e32 v20, v20, v26
	v_lshrrev_b32_e32 v30, v22, v28
	v_mul_f64 v[4:5], v[4:5], s[4:5]
	v_and_b32_e32 v29, 7, v18
	v_cndmask_b32_e32 v6, v27, v6, vcc_lo
	v_cmp_ne_u32_e32 vcc_lo, v20, v24
	v_lshrrev_b32_e32 v18, 2, v18
	v_lshl_or_b32 v27, v25, 12, v15
	v_cmp_eq_u32_e64 s0, 3, v29
	v_and_b32_e32 v31, 7, v6
	v_cndmask_b32_e64 v20, 0, 1, vcc_lo
	v_cmp_lt_i32_e32 vcc_lo, 5, v29
	v_lshrrev_b32_e32 v6, 2, v6
	v_lshrrev_b32_e32 v12, 16, v12
	v_cmp_lt_i32_e64 s1, 5, v31
	v_cmp_eq_u32_e64 s2, 3, v31
	s_or_b32 vcc_lo, s0, vcc_lo
	v_or_b32_e32 v20, v26, v20
	v_add_co_ci_u32_e32 v18, vcc_lo, 0, v18, vcc_lo
	s_or_b32 vcc_lo, s2, s1
	s_mul_hi_u32 s2, s8, 0x5e8
	v_add_co_ci_u32_e32 v6, vcc_lo, 0, v6, vcc_lo
	v_cmp_gt_i32_e32 vcc_lo, 31, v19
	v_and_or_b32 v4, 0x1ff, v5, v4
	v_cndmask_b32_e32 v18, 0x7c00, v18, vcc_lo
	v_cmp_gt_i32_e32 vcc_lo, 31, v17
	v_cndmask_b32_e32 v6, 0x7c00, v6, vcc_lo
	v_cmp_eq_u32_e32 vcc_lo, 0x40f, v19
	v_cndmask_b32_e32 v0, v18, v0, vcc_lo
	v_cmp_gt_i32_e32 vcc_lo, 1, v25
	v_and_or_b32 v0, 0x8000, v1, v0
	v_cndmask_b32_e32 v18, v27, v20, vcc_lo
	v_cmp_eq_u32_e32 vcc_lo, 0x40f, v17
	v_lshlrev_b32_e32 v1, v22, v30
	v_and_b32_e32 v0, 0xffff, v0
	v_and_b32_e32 v17, 7, v18
	v_cndmask_b32_e32 v2, v6, v2, vcc_lo
	v_cmp_ne_u32_e32 vcc_lo, v1, v28
	v_add_nc_u32_e32 v6, 0xfffffc10, v23
	v_cmp_eq_u32_e64 s0, 3, v17
	v_and_or_b32 v2, 0x8000, v7, v2
	v_cndmask_b32_e64 v7, 0, 1, vcc_lo
	v_cmp_lt_i32_e32 vcc_lo, 5, v17
	v_lshl_or_b32 v2, v2, 16, v0
	v_add_co_u32 v0, s1, v10, v8
	v_lshrrev_b32_e32 v8, 2, v18
	s_or_b32 vcc_lo, s0, vcc_lo
	v_add_co_ci_u32_e64 v1, s1, v21, v9, s1
	v_or_b32_e32 v7, v30, v7
	v_add_co_ci_u32_e32 v8, vcc_lo, 0, v8, vcc_lo
	v_cmp_ne_u32_e32 vcc_lo, 0, v15
	v_lshl_or_b32 v9, v6, 12, v11
	global_store_dword v[0:1], v2, off
	v_lshrrev_b32_e32 v15, 16, v3
	v_cndmask_b32_e64 v10, 0, 1, vcc_lo
	v_cmp_gt_i32_e32 vcc_lo, 1, v6
	v_cndmask_b32_e32 v7, v9, v7, vcc_lo
	v_cmp_gt_i32_e32 vcc_lo, 31, v25
	v_lshl_or_b32 v9, v10, 9, 0x7c00
	v_and_or_b32 v10, 0x1ff, v14, v13
	v_lshrrev_b32_e32 v13, 8, v14
	v_and_b32_e32 v2, 7, v7
	v_cndmask_b32_e32 v8, 0x7c00, v8, vcc_lo
	v_cmp_eq_u32_e32 vcc_lo, 0x40f, v25
	v_cmp_ne_u32_e64 s0, 0, v10
	v_lshrrev_b32_e32 v7, 2, v7
	v_cndmask_b32_e32 v8, v8, v9, vcc_lo
	v_lshrrev_b32_e32 v9, 16, v16
	v_cmp_lt_i32_e32 vcc_lo, 5, v2
	v_cndmask_b32_e64 v10, 0, 1, s0
	v_cmp_eq_u32_e64 s0, 3, v2
	v_mul_f16_sdwa v16, v59, v15 dst_sel:DWORD dst_unused:UNUSED_PAD src0_sel:WORD_1 src1_sel:DWORD
	v_and_or_b32 v2, 0x8000, v9, v8
	v_bfe_u32 v8, v14, 20, 11
	v_and_or_b32 v9, 0xffe, v13, v10
	s_or_b32 vcc_lo, s0, vcc_lo
	v_fmac_f16_e32 v16, v59, v3
	v_add_co_ci_u32_e32 v7, vcc_lo, 0, v7, vcc_lo
	v_sub_nc_u32_e32 v10, 0x3f1, v8
	v_cmp_ne_u32_e32 vcc_lo, 0, v11
	v_or_b32_e32 v13, 0x1000, v9
	v_add_nc_u32_e32 v18, 0xfffffc10, v8
	v_and_b32_e32 v2, 0xffff, v2
	v_med3_i32 v10, v10, 0, 13
	v_cndmask_b32_e64 v11, 0, 1, vcc_lo
	v_cmp_gt_i32_e32 vcc_lo, 31, v6
	s_mul_i32 s0, s9, 0x5e8
	v_mul_f16_sdwa v3, v59, v3 dst_sel:DWORD dst_unused:UNUSED_PAD src0_sel:WORD_1 src1_sel:DWORD
	v_lshrrev_b32_e32 v17, v10, v13
	v_lshl_or_b32 v11, v11, 9, 0x7c00
	v_cndmask_b32_e32 v7, 0x7c00, v7, vcc_lo
	v_cmp_eq_u32_e32 vcc_lo, 0x40f, v6
	s_add_i32 s2, s2, s0
	v_lshlrev_b32_e32 v6, v10, v17
	v_lshrrev_b32_e32 v10, 8, v5
	v_fma_f16 v3, v59, v15, -v3
	v_cndmask_b32_e32 v11, v7, v11, vcc_lo
	v_cmp_ne_u32_e32 vcc_lo, 0, v4
	v_cvt_f32_f16_e32 v7, v16
	v_bfe_u32 v16, v5, 20, 11
	v_lshrrev_b32_e32 v14, 16, v14
	v_and_or_b32 v11, 0x8000, v12, v11
	v_cndmask_b32_e64 v4, 0, 1, vcc_lo
	v_cmp_ne_u32_e32 vcc_lo, v6, v13
	v_cvt_f64_f32_e32 v[6:7], v7
	v_sub_nc_u32_e32 v8, 0x3f1, v16
	v_lshl_or_b32 v19, v11, 16, v2
	v_and_or_b32 v4, 0xffe, v10, v4
	v_cndmask_b32_e64 v13, 0, 1, vcc_lo
	v_cmp_gt_i32_e32 vcc_lo, 1, v18
	v_med3_i32 v8, v8, 0, 13
	v_lshrrev_b32_e32 v5, 16, v5
	v_or_b32_e32 v10, v17, v13
	v_lshl_or_b32 v13, v18, 12, v9
	v_or_b32_e32 v17, 0x1000, v4
	v_cndmask_b32_e32 v10, v13, v10, vcc_lo
	v_lshrrev_b32_e32 v12, v8, v17
	v_and_b32_e32 v13, 7, v10
	v_lshlrev_b32_e32 v2, v8, v12
	v_mul_f64 v[6:7], v[6:7], s[4:5]
	v_lshrrev_b32_e32 v8, 2, v10
	v_add_nc_u32_e32 v10, 0xfffffc10, v16
	v_cmp_lt_i32_e32 vcc_lo, 5, v13
	v_cmp_eq_u32_e64 s0, 3, v13
	v_cmp_ne_u32_e64 s1, v2, v17
	v_lshl_or_b32 v11, v10, 12, v4
	s_or_b32 vcc_lo, s0, vcc_lo
	v_cndmask_b32_e64 v2, 0, 1, s1
	v_add_co_ci_u32_e32 v8, vcc_lo, 0, v8, vcc_lo
	v_cmp_ne_u32_e32 vcc_lo, 0, v9
	s_mul_i32 s1, s9, 0xfffffb14
	v_or_b32_e32 v2, v12, v2
	v_cndmask_b32_e64 v9, 0, 1, vcc_lo
	v_cmp_gt_i32_e32 vcc_lo, 1, v10
	v_and_or_b32 v6, 0x1ff, v7, v6
	v_lshl_or_b32 v13, v9, 9, 0x7c00
	v_cndmask_b32_e32 v11, v11, v2, vcc_lo
	v_cvt_f32_f16_e32 v2, v3
	v_cmp_gt_i32_e32 vcc_lo, 31, v18
	v_cmp_ne_u32_e64 s0, 0, v6
	v_bfe_u32 v16, v7, 20, 11
	v_and_b32_e32 v15, 7, v11
	v_cvt_f64_f32_e32 v[2:3], v2
	v_cndmask_b32_e32 v12, 0x7c00, v8, vcc_lo
	ds_read2_b32 v[8:9], v52 offset0:126 offset1:189
	v_cmp_eq_u32_e32 vcc_lo, 0x40f, v18
	v_cndmask_b32_e64 v6, 0, 1, s0
	v_cmp_eq_u32_e64 s0, 3, v15
	v_lshrrev_b32_e32 v11, 2, v11
	v_cndmask_b32_e32 v12, v12, v13, vcc_lo
	v_lshrrev_b32_e32 v13, 8, v7
	v_cmp_lt_i32_e32 vcc_lo, 5, v15
	v_and_or_b32 v12, 0x8000, v14, v12
	v_and_or_b32 v6, 0xffe, v13, v6
	v_sub_nc_u32_e32 v13, 0x3f1, v16
	s_or_b32 vcc_lo, s0, vcc_lo
	v_add_nc_u32_e32 v14, 0xfffffc10, v16
	v_add_co_ci_u32_e32 v11, vcc_lo, 0, v11, vcc_lo
	v_or_b32_e32 v15, 0x1000, v6
	v_med3_i32 v13, v13, 0, 13
	v_cmp_ne_u32_e32 vcc_lo, 0, v4
	s_waitcnt lgkmcnt(0)
	v_lshrrev_b32_e32 v17, 16, v8
	v_mul_f64 v[2:3], v[2:3], s[4:5]
	s_mul_hi_u32 s0, s8, 0xfffffb14
	v_lshrrev_b32_e32 v18, v13, v15
	v_cndmask_b32_e64 v4, 0, 1, vcc_lo
	v_cmp_gt_i32_e32 vcc_lo, 31, v10
	v_mul_f16_sdwa v20, v58, v17 dst_sel:DWORD dst_unused:UNUSED_PAD src0_sel:WORD_1 src1_sel:DWORD
	s_sub_i32 s6, s0, s8
	v_lshlrev_b32_e32 v13, v13, v18
	v_lshl_or_b32 v4, v4, 9, 0x7c00
	v_cndmask_b32_e32 v11, 0x7c00, v11, vcc_lo
	v_cmp_eq_u32_e32 vcc_lo, 0x40f, v10
	v_fmac_f16_e32 v20, v58, v8
	v_mul_f16_sdwa v8, v58, v8 dst_sel:DWORD dst_unused:UNUSED_PAD src0_sel:WORD_1 src1_sel:DWORD
	s_add_i32 s6, s6, s1
	v_cndmask_b32_e32 v4, v11, v4, vcc_lo
	v_cmp_ne_u32_e32 vcc_lo, v13, v15
	v_cvt_f32_f16_e32 v10, v20
	v_fma_f16 v8, v58, v17, -v8
	v_and_or_b32 v13, 0x8000, v5, v4
	v_cndmask_b32_e64 v11, 0, 1, vcc_lo
	v_cvt_f64_f32_e32 v[4:5], v10
	v_add_co_u32 v0, vcc_lo, v0, s3
	v_add_co_ci_u32_e32 v1, vcc_lo, s2, v1, vcc_lo
	v_and_b32_e32 v10, 0xffff, v12
	v_or_b32_e32 v11, v18, v11
	v_lshl_or_b32 v12, v14, 12, v6
	v_and_or_b32 v2, 0x1ff, v3, v2
	v_cmp_gt_i32_e32 vcc_lo, 1, v14
	v_lshl_or_b32 v16, v13, 16, v10
	v_cvt_f32_f16_e32 v8, v8
	global_store_dword v[0:1], v19, off
	v_cndmask_b32_e32 v10, v12, v11, vcc_lo
	v_cmp_ne_u32_e32 vcc_lo, 0, v2
	v_lshrrev_b32_e32 v11, 8, v3
	v_bfe_u32 v12, v3, 20, 11
	v_lshrrev_b32_e32 v3, 16, v3
	v_and_b32_e32 v13, 7, v10
	v_cndmask_b32_e64 v2, 0, 1, vcc_lo
	v_lshrrev_b32_e32 v10, 2, v10
	v_mul_f64 v[4:5], v[4:5], s[4:5]
	v_cmp_lt_i32_e32 vcc_lo, 5, v13
	v_and_or_b32 v2, 0xffe, v11, v2
	v_sub_nc_u32_e32 v11, 0x3f1, v12
	v_cmp_eq_u32_e64 s0, 3, v13
	v_or_b32_e32 v15, 0x1000, v2
	v_med3_i32 v11, v11, 0, 13
	s_or_b32 vcc_lo, s0, vcc_lo
	v_add_co_ci_u32_e32 v10, vcc_lo, 0, v10, vcc_lo
	v_lshrrev_b32_e32 v13, v11, v15
	v_cmp_gt_i32_e32 vcc_lo, 31, v14
	v_lshlrev_b32_e32 v17, v11, v13
	v_cndmask_b32_e32 v18, 0x7c00, v10, vcc_lo
	v_cvt_f64_f32_e32 v[10:11], v8
	v_and_or_b32 v4, 0x1ff, v5, v4
	v_cmp_ne_u32_e32 vcc_lo, v17, v15
	v_add_nc_u32_e32 v17, 0xfffffc10, v12
	v_bfe_u32 v15, v5, 20, 11
	v_cndmask_b32_e64 v8, 0, 1, vcc_lo
	v_cmp_ne_u32_e32 vcc_lo, 0, v6
	v_lshl_or_b32 v12, v17, 12, v2
	v_sub_nc_u32_e32 v20, 0x3f1, v15
	v_or_b32_e32 v8, v13, v8
	v_cndmask_b32_e64 v6, 0, 1, vcc_lo
	v_cmp_ne_u32_e32 vcc_lo, 0, v4
	v_lshrrev_b32_e32 v13, 8, v5
	v_med3_i32 v20, v20, 0, 13
	v_lshrrev_b32_e32 v5, 16, v5
	v_lshl_or_b32 v6, v6, 9, 0x7c00
	v_cndmask_b32_e64 v4, 0, 1, vcc_lo
	v_cmp_gt_i32_e32 vcc_lo, 1, v17
	v_mul_f64 v[10:11], v[10:11], s[4:5]
	v_and_or_b32 v4, 0xffe, v13, v4
	v_cndmask_b32_e32 v8, v12, v8, vcc_lo
	v_add_nc_u32_e32 v12, 0x600, v52
	v_cmp_eq_u32_e32 vcc_lo, 0x40f, v14
	v_or_b32_e32 v22, 0x1000, v4
	v_and_b32_e32 v21, 7, v8
	ds_read2_b32 v[12:13], v12 offset0:120 offset1:183
	v_cndmask_b32_e32 v14, v18, v6, vcc_lo
	v_lshrrev_b32_e32 v18, 16, v7
	v_lshrrev_b32_e32 v8, 2, v8
	v_cmp_lt_i32_e32 vcc_lo, 5, v21
	v_cmp_eq_u32_e64 s0, 3, v21
	v_lshrrev_b32_e32 v21, v20, v22
	v_and_or_b32 v18, 0x8000, v18, v14
	v_add_co_u32 v6, s1, v0, s7
	s_or_b32 vcc_lo, s0, vcc_lo
	v_lshlrev_b32_e32 v14, v20, v21
	v_add_co_ci_u32_e32 v8, vcc_lo, 0, v8, vcc_lo
	v_and_or_b32 v10, 0x1ff, v11, v10
	v_lshrrev_b32_e32 v23, 8, v11
	v_cmp_ne_u32_e32 vcc_lo, v14, v22
	v_add_nc_u32_e32 v22, 0xfffffc10, v15
	v_bfe_u32 v24, v11, 20, 11
	v_add_co_ci_u32_e64 v7, s1, s6, v1, s1
	s_waitcnt lgkmcnt(0)
	v_lshrrev_b32_e32 v20, 16, v12
	v_cndmask_b32_e64 v14, 0, 1, vcc_lo
	v_cmp_ne_u32_e32 vcc_lo, 0, v2
	global_store_dword v[6:7], v16, off
	v_and_b32_e32 v18, 0xffff, v18
	v_mul_f16_sdwa v15, v57, v20 dst_sel:DWORD dst_unused:UNUSED_PAD src0_sel:WORD_1 src1_sel:DWORD
	v_or_b32_e32 v14, v21, v14
	v_cndmask_b32_e64 v2, 0, 1, vcc_lo
	v_cmp_ne_u32_e32 vcc_lo, 0, v10
	v_lshl_or_b32 v21, v22, 12, v4
	v_fmac_f16_e32 v15, v57, v12
	v_lshrrev_b32_e32 v11, 16, v11
	v_lshl_or_b32 v2, v2, 9, 0x7c00
	v_cndmask_b32_e64 v10, 0, 1, vcc_lo
	v_cmp_gt_i32_e32 vcc_lo, 1, v22
	v_cvt_f32_f16_e32 v15, v15
	v_and_or_b32 v10, 0xffe, v23, v10
	v_cndmask_b32_e32 v21, v21, v14, vcc_lo
	v_cmp_gt_i32_e32 vcc_lo, 31, v17
	v_sub_nc_u32_e32 v23, 0x3f1, v24
	v_cvt_f64_f32_e32 v[14:15], v15
	v_or_b32_e32 v26, 0x1000, v10
	v_and_b32_e32 v25, 7, v21
	v_cndmask_b32_e32 v8, 0x7c00, v8, vcc_lo
	v_cmp_eq_u32_e32 vcc_lo, 0x40f, v17
	v_med3_i32 v23, v23, 0, 13
	v_cmp_eq_u32_e64 s0, 3, v25
	v_cndmask_b32_e32 v2, v8, v2, vcc_lo
	v_mul_f16_sdwa v8, v57, v12 dst_sel:DWORD dst_unused:UNUSED_PAD src0_sel:WORD_1 src1_sel:DWORD
	v_lshrrev_b32_e32 v12, v23, v26
	v_cmp_lt_i32_e32 vcc_lo, 5, v25
	v_and_or_b32 v17, 0x8000, v3, v2
	v_lshrrev_b32_e32 v2, 2, v21
	v_fma_f16 v3, v57, v20, -v8
	v_lshlrev_b32_e32 v8, v23, v12
	s_or_b32 vcc_lo, s0, vcc_lo
	v_add_nc_u32_e32 v23, 0xfffffc10, v24
	v_add_co_ci_u32_e32 v20, vcc_lo, 0, v2, vcc_lo
	v_cmp_ne_u32_e32 vcc_lo, v8, v26
	v_cvt_f32_f16_e32 v21, v3
	v_mul_f64 v[2:3], v[14:15], s[4:5]
	v_cndmask_b32_e64 v8, 0, 1, vcc_lo
	v_cmp_ne_u32_e32 vcc_lo, 0, v4
	v_cvt_f64_f32_e32 v[14:15], v21
	v_mul_f16_sdwa v21, v56, v9 dst_sel:DWORD dst_unused:UNUSED_PAD src0_sel:WORD_1 src1_sel:DWORD
	v_or_b32_e32 v8, v12, v8
	v_cndmask_b32_e64 v4, 0, 1, vcc_lo
	v_cmp_gt_i32_e32 vcc_lo, 31, v22
	v_lshl_or_b32 v12, v23, 12, v10
	v_lshl_or_b32 v4, v4, 9, 0x7c00
	v_cndmask_b32_e32 v20, 0x7c00, v20, vcc_lo
	v_cmp_gt_i32_e32 vcc_lo, 1, v23
	v_cndmask_b32_e32 v8, v12, v8, vcc_lo
	v_cmp_eq_u32_e32 vcc_lo, 0x40f, v22
	v_and_or_b32 v2, 0x1ff, v3, v2
	v_lshl_or_b32 v12, v17, 16, v18
	v_and_b32_e32 v0, 7, v8
	v_cndmask_b32_e32 v4, v20, v4, vcc_lo
	v_cmp_ne_u32_e64 s1, 0, v2
	v_cmp_lt_i32_e32 vcc_lo, 5, v0
	v_cmp_eq_u32_e64 s0, 3, v0
	v_mul_f64 v[0:1], v[14:15], s[4:5]
	v_and_or_b32 v16, 0x8000, v5, v4
	v_lshrrev_b32_e32 v4, 2, v8
	v_cndmask_b32_e64 v2, 0, 1, s1
	v_lshrrev_b32_e32 v5, 8, v3
	v_bfe_u32 v8, v3, 20, 11
	s_or_b32 vcc_lo, s0, vcc_lo
	v_lshrrev_b32_e32 v14, 16, v9
	v_add_co_ci_u32_e32 v4, vcc_lo, 0, v4, vcc_lo
	v_and_or_b32 v2, 0xffe, v5, v2
	v_sub_nc_u32_e32 v5, 0x3f1, v8
	v_cmp_ne_u32_e32 vcc_lo, 0, v10
	v_mul_f16_sdwa v17, v56, v14 dst_sel:DWORD dst_unused:UNUSED_PAD src0_sel:WORD_1 src1_sel:DWORD
	v_fma_f16 v14, v56, v14, -v21
	v_or_b32_e32 v15, 0x1000, v2
	v_med3_i32 v5, v5, 0, 13
	v_cndmask_b32_e64 v10, 0, 1, vcc_lo
	v_cmp_gt_i32_e32 vcc_lo, 31, v23
	v_fmac_f16_e32 v17, v56, v9
	v_cvt_f32_f16_e32 v14, v14
	v_lshrrev_b32_e32 v18, v5, v15
	v_lshl_or_b32 v10, v10, 9, 0x7c00
	v_cndmask_b32_e32 v4, 0x7c00, v4, vcc_lo
	v_and_or_b32 v0, 0x1ff, v1, v0
	v_cmp_eq_u32_e32 vcc_lo, 0x40f, v23
	v_lshlrev_b32_e32 v19, v5, v18
	v_bfe_u32 v20, v1, 20, 11
	v_cndmask_b32_e32 v10, v4, v10, vcc_lo
	v_cmp_ne_u32_e32 vcc_lo, 0, v0
	v_cvt_f32_f16_e32 v4, v17
	v_lshrrev_b32_e32 v17, 8, v1
	v_and_or_b32 v10, 0x8000, v11, v10
	v_cndmask_b32_e64 v0, 0, 1, vcc_lo
	v_cmp_ne_u32_e32 vcc_lo, v19, v15
	v_cvt_f64_f32_e32 v[4:5], v4
	v_add_nc_u32_e32 v19, 0xfffffc10, v8
	v_sub_nc_u32_e32 v8, 0x3f1, v20
	v_and_or_b32 v0, 0xffe, v17, v0
	v_cndmask_b32_e64 v15, 0, 1, vcc_lo
	v_and_b32_e32 v11, 0xffff, v16
	v_lshl_or_b32 v17, v19, 12, v2
	v_med3_i32 v8, v8, 0, 13
	v_cmp_gt_i32_e32 vcc_lo, 1, v19
	v_or_b32_e32 v15, v18, v15
	v_or_b32_e32 v18, 0x1000, v0
	v_cndmask_b32_e32 v15, v17, v15, vcc_lo
	v_lshrrev_b32_e32 v16, v8, v18
	v_lshl_or_b32 v17, v10, 16, v11
	v_add_co_u32 v6, vcc_lo, v6, s3
	v_add_co_ci_u32_e32 v7, vcc_lo, s2, v7, vcc_lo
	v_lshlrev_b32_e32 v11, v8, v16
	v_and_b32_e32 v10, 7, v15
	v_mul_f64 v[4:5], v[4:5], s[4:5]
	v_add_co_u32 v8, vcc_lo, v6, s7
	v_cmp_ne_u32_e64 s0, v11, v18
	v_add_co_ci_u32_e32 v9, vcc_lo, s6, v7, vcc_lo
	v_cmp_lt_i32_e32 vcc_lo, 5, v10
	v_lshrrev_b32_e32 v15, 2, v15
	v_cndmask_b32_e64 v11, 0, 1, s0
	v_cmp_eq_u32_e64 s0, 3, v10
	v_add_nc_u32_e32 v18, 0xfffffc10, v20
	global_store_dword v[6:7], v12, off
	global_store_dword v[8:9], v17, off
	v_or_b32_e32 v16, v16, v11
	s_or_b32 vcc_lo, s0, vcc_lo
	v_cvt_f64_f32_e32 v[10:11], v14
	v_add_co_ci_u32_e32 v14, vcc_lo, 0, v15, vcc_lo
	v_cmp_ne_u32_e32 vcc_lo, 0, v2
	v_lshl_or_b32 v20, v18, 12, v0
	v_and_or_b32 v4, 0x1ff, v5, v4
	v_cndmask_b32_e64 v2, 0, 1, vcc_lo
	v_cmp_gt_i32_e32 vcc_lo, 1, v18
	v_bfe_u32 v21, v5, 20, 11
	v_lshl_or_b32 v2, v2, 9, 0x7c00
	v_cndmask_b32_e32 v15, v20, v16, vcc_lo
	v_cmp_gt_i32_e32 vcc_lo, 31, v19
	v_lshrrev_b32_e32 v20, 8, v5
	v_and_b32_e32 v16, 7, v15
	v_cndmask_b32_e32 v14, 0x7c00, v14, vcc_lo
	v_cmp_ne_u32_e32 vcc_lo, 0, v4
	v_cmp_eq_u32_e64 s0, 3, v16
	v_cndmask_b32_e64 v4, 0, 1, vcc_lo
	v_cmp_eq_u32_e32 vcc_lo, 0x40f, v19
	v_lshrrev_b32_e32 v19, 16, v3
	v_and_or_b32 v4, 0xffe, v20, v4
	v_cndmask_b32_e32 v14, v14, v2, vcc_lo
	v_cmp_lt_i32_e32 vcc_lo, 5, v16
	v_mul_f64 v[2:3], v[10:11], s[4:5]
	v_lshrrev_b32_e32 v10, 2, v15
	v_sub_nc_u32_e32 v20, 0x3f1, v21
	v_or_b32_e32 v11, 0x1000, v4
	s_or_b32 vcc_lo, s0, vcc_lo
	v_lshrrev_b32_e32 v16, 16, v13
	v_add_co_ci_u32_e32 v10, vcc_lo, 0, v10, vcc_lo
	v_med3_i32 v15, v20, 0, 13
	v_cmp_ne_u32_e32 vcc_lo, 0, v0
	v_mul_f16_sdwa v22, v55, v16 dst_sel:DWORD dst_unused:UNUSED_PAD src0_sel:WORD_1 src1_sel:DWORD
	v_and_or_b32 v14, 0x8000, v19, v14
	v_lshrrev_b32_e32 v20, v15, v11
	v_cndmask_b32_e64 v0, 0, 1, vcc_lo
	v_cmp_gt_i32_e32 vcc_lo, 31, v18
	v_fmac_f16_e32 v22, v55, v13
	v_and_b32_e32 v14, 0xffff, v14
	v_lshlrev_b32_e32 v15, v15, v20
	v_lshl_or_b32 v0, v0, 9, 0x7c00
	v_cndmask_b32_e32 v10, 0x7c00, v10, vcc_lo
	v_cmp_eq_u32_e32 vcc_lo, 0x40f, v18
	v_lshrrev_b32_e32 v18, 16, v1
	v_cvt_f32_f16_e32 v1, v22
	v_lshrrev_b32_e32 v19, 8, v3
	v_cndmask_b32_e32 v10, v10, v0, vcc_lo
	v_and_or_b32 v0, 0x1ff, v3, v2
	v_cmp_ne_u32_e32 vcc_lo, v15, v11
	v_add_nc_u32_e32 v15, 0xfffffc10, v21
	v_bfe_u32 v21, v3, 20, 11
	v_and_or_b32 v10, 0x8000, v18, v10
	v_lshrrev_b32_e32 v3, 16, v3
	v_cndmask_b32_e64 v2, 0, 1, vcc_lo
	v_cmp_ne_u32_e32 vcc_lo, 0, v0
	v_cvt_f64_f32_e32 v[0:1], v1
	v_lshl_or_b32 v18, v15, 12, v4
	v_lshl_or_b32 v12, v10, 16, v14
	v_or_b32_e32 v2, v20, v2
	v_cndmask_b32_e64 v11, 0, 1, vcc_lo
	v_cmp_gt_i32_e32 vcc_lo, 1, v15
	v_and_or_b32 v19, 0xffe, v19, v11
	v_sub_nc_u32_e32 v11, 0x3f1, v21
	v_cndmask_b32_e32 v2, v18, v2, vcc_lo
	v_add_co_u32 v6, vcc_lo, v8, s3
	v_or_b32_e32 v18, 0x1000, v19
	v_med3_i32 v11, v11, 0, 13
	v_and_b32_e32 v10, 7, v2
	v_add_co_ci_u32_e32 v7, vcc_lo, s2, v9, vcc_lo
	v_mul_f16_sdwa v9, v55, v13 dst_sel:DWORD dst_unused:UNUSED_PAD src0_sel:WORD_1 src1_sel:DWORD
	v_lshrrev_b32_e32 v14, v11, v18
	v_cmp_lt_i32_e32 vcc_lo, 5, v10
	v_mul_f64 v[0:1], v[0:1], s[4:5]
	v_cmp_eq_u32_e64 s0, 3, v10
	v_lshrrev_b32_e32 v2, 2, v2
	v_lshlrev_b32_e32 v8, v11, v14
	v_fma_f16 v9, v55, v16, -v9
	v_add_nc_u32_e32 v13, 0xfffffc10, v21
	s_or_b32 vcc_lo, s0, vcc_lo
	global_store_dword v[6:7], v12, off
	v_cmp_ne_u32_e64 s1, v8, v18
	v_add_co_ci_u32_e32 v2, vcc_lo, 0, v2, vcc_lo
	v_cmp_ne_u32_e32 vcc_lo, 0, v4
	v_lshl_or_b32 v11, v13, 12, v19
	v_cndmask_b32_e64 v8, 0, 1, s1
	v_cndmask_b32_e64 v4, 0, 1, vcc_lo
	v_cmp_gt_i32_e32 vcc_lo, 1, v13
	v_or_b32_e32 v10, v14, v8
	v_cvt_f32_f16_e32 v8, v9
	v_add_nc_u32_e32 v14, 0x200, v52
	v_lshl_or_b32 v4, v4, 9, 0x7c00
	v_and_or_b32 v0, 0x1ff, v1, v0
	v_cndmask_b32_e32 v16, v11, v10, vcc_lo
	v_cvt_f64_f32_e32 v[8:9], v8
	v_cmp_gt_i32_e32 vcc_lo, 31, v15
	ds_read2_b32 v[10:11], v14 offset0:124 offset1:187
	v_bfe_u32 v18, v1, 20, 11
	v_and_b32_e32 v14, 7, v16
	v_lshrrev_b32_e32 v17, 8, v1
	v_cndmask_b32_e32 v2, 0x7c00, v2, vcc_lo
	v_cmp_ne_u32_e32 vcc_lo, 0, v0
	v_cmp_eq_u32_e64 s0, 3, v14
	v_cndmask_b32_e64 v0, 0, 1, vcc_lo
	v_cmp_eq_u32_e32 vcc_lo, 0x40f, v15
	v_lshrrev_b32_e32 v15, 16, v5
	v_and_or_b32 v0, 0xffe, v17, v0
	v_cndmask_b32_e32 v2, v2, v4, vcc_lo
	v_sub_nc_u32_e32 v4, 0x3f1, v18
	v_cmp_lt_i32_e32 vcc_lo, 5, v14
	v_lshrrev_b32_e32 v14, 2, v16
	v_or_b32_e32 v16, 0x1000, v0
	v_and_or_b32 v15, 0x8000, v15, v2
	v_med3_i32 v17, v4, 0, 13
	v_mul_f64 v[4:5], v[8:9], s[4:5]
	s_or_b32 vcc_lo, s0, vcc_lo
	s_waitcnt lgkmcnt(0)
	v_lshrrev_b32_e32 v8, 16, v10
	v_add_co_ci_u32_e32 v9, vcc_lo, 0, v14, vcc_lo
	v_cmp_ne_u32_e32 vcc_lo, 0, v19
	v_lshrrev_b32_e32 v19, v17, v16
	v_mul_f16_sdwa v20, v54, v8 dst_sel:DWORD dst_unused:UNUSED_PAD src0_sel:WORD_1 src1_sel:DWORD
	v_and_b32_e32 v15, 0xffff, v15
	v_cndmask_b32_e64 v14, 0, 1, vcc_lo
	v_cmp_gt_i32_e32 vcc_lo, 31, v13
	v_lshlrev_b32_e32 v2, v17, v19
	v_fmac_f16_e32 v20, v54, v10
	v_mul_f16_sdwa v10, v54, v10 dst_sel:DWORD dst_unused:UNUSED_PAD src0_sel:WORD_1 src1_sel:DWORD
	v_lshl_or_b32 v14, v14, 9, 0x7c00
	v_cndmask_b32_e32 v9, 0x7c00, v9, vcc_lo
	v_cmp_eq_u32_e32 vcc_lo, 0x40f, v13
	v_cvt_f32_f16_e32 v13, v20
	v_fma_f16 v8, v54, v8, -v10
	v_cndmask_b32_e32 v9, v9, v14, vcc_lo
	v_cmp_ne_u32_e32 vcc_lo, v2, v16
	v_and_or_b32 v4, 0x1ff, v5, v4
	v_add_nc_u32_e32 v16, 0xfffffc10, v18
	v_lshrrev_b32_e32 v17, 8, v5
	v_and_or_b32 v9, 0x8000, v3, v9
	v_cndmask_b32_e64 v14, 0, 1, vcc_lo
	v_cmp_ne_u32_e32 vcc_lo, 0, v4
	v_cvt_f64_f32_e32 v[2:3], v13
	v_bfe_u32 v18, v5, 20, 11
	v_lshl_or_b32 v9, v9, 16, v15
	v_or_b32_e32 v13, v19, v14
	v_lshl_or_b32 v14, v16, 12, v0
	v_cndmask_b32_e64 v4, 0, 1, vcc_lo
	v_cmp_gt_i32_e32 vcc_lo, 1, v16
	v_lshrrev_b32_e32 v5, 16, v5
	v_and_or_b32 v4, 0xffe, v17, v4
	v_cndmask_b32_e32 v13, v14, v13, vcc_lo
	v_sub_nc_u32_e32 v14, 0x3f1, v18
	v_add_co_u32 v6, vcc_lo, v6, s7
	v_or_b32_e32 v15, 0x1000, v4
	v_and_b32_e32 v12, 7, v13
	v_med3_i32 v14, v14, 0, 13
	v_add_co_ci_u32_e32 v7, vcc_lo, s6, v7, vcc_lo
	v_cmp_lt_i32_e32 vcc_lo, 5, v12
	v_lshrrev_b32_e32 v17, v14, v15
	v_cmp_eq_u32_e64 s0, 3, v12
	v_mul_f64 v[2:3], v[2:3], s[4:5]
	global_store_dword v[6:7], v9, off
	v_lshrrev_b32_e32 v9, 2, v13
	v_lshlrev_b32_e32 v12, v14, v17
	s_or_b32 vcc_lo, s0, vcc_lo
	v_add_co_u32 v6, s1, v6, s3
	v_add_co_ci_u32_e32 v10, vcc_lo, 0, v9, vcc_lo
	v_cmp_ne_u32_e32 vcc_lo, v12, v15
	v_add_nc_u32_e32 v9, 0x800, v52
	v_cvt_f32_f16_e32 v12, v8
	v_add_nc_u32_e32 v15, 0xfffffc10, v18
	v_add_co_ci_u32_e64 v7, s1, s2, v7, s1
	v_cndmask_b32_e64 v14, 0, 1, vcc_lo
	v_cmp_ne_u32_e32 vcc_lo, 0, v0
	ds_read2_b32 v[8:9], v9 offset0:118 offset1:181
	v_cvt_f64_f32_e32 v[12:13], v12
	v_or_b32_e32 v14, v17, v14
	v_cndmask_b32_e64 v0, 0, 1, vcc_lo
	v_cmp_gt_i32_e32 vcc_lo, 31, v16
	v_lshl_or_b32 v17, v15, 12, v4
	v_and_or_b32 v2, 0x1ff, v3, v2
	v_bfe_u32 v18, v3, 20, 11
	v_lshl_or_b32 v0, v0, 9, 0x7c00
	v_cndmask_b32_e32 v10, 0x7c00, v10, vcc_lo
	v_cmp_gt_i32_e32 vcc_lo, 1, v15
	v_sub_nc_u32_e32 v19, 0x3f1, v18
	v_add_nc_u32_e32 v18, 0xfffffc10, v18
	v_cndmask_b32_e32 v14, v17, v14, vcc_lo
	v_cmp_ne_u32_e32 vcc_lo, 0, v2
	v_lshrrev_b32_e32 v17, 8, v3
	v_lshrrev_b32_e32 v3, 16, v3
	s_waitcnt lgkmcnt(0)
	v_lshrrev_b32_e32 v20, 16, v8
	v_cndmask_b32_e64 v2, 0, 1, vcc_lo
	v_cmp_eq_u32_e32 vcc_lo, 0x40f, v16
	v_and_b32_e32 v16, 7, v14
	v_lshrrev_b32_e32 v14, 2, v14
	v_and_or_b32 v2, 0xffe, v17, v2
	v_cndmask_b32_e32 v10, v10, v0, vcc_lo
	v_cmp_lt_i32_e32 vcc_lo, 5, v16
	v_cmp_eq_u32_e64 s0, 3, v16
	v_lshrrev_b32_e32 v17, 16, v1
	v_mul_f64 v[0:1], v[12:13], s[4:5]
	v_or_b32_e32 v21, 0x1000, v2
	v_med3_i32 v12, v19, 0, 13
	v_mul_f16_sdwa v13, v53, v20 dst_sel:DWORD dst_unused:UNUSED_PAD src0_sel:WORD_1 src1_sel:DWORD
	s_or_b32 vcc_lo, s0, vcc_lo
	v_and_or_b32 v10, 0x8000, v17, v10
	v_add_co_ci_u32_e32 v14, vcc_lo, 0, v14, vcc_lo
	v_lshrrev_b32_e32 v16, v12, v21
	v_cmp_ne_u32_e32 vcc_lo, 0, v4
	v_fmac_f16_e32 v13, v53, v8
	v_and_b32_e32 v10, 0xffff, v10
	v_mul_f16_sdwa v8, v53, v8 dst_sel:DWORD dst_unused:UNUSED_PAD src0_sel:WORD_1 src1_sel:DWORD
	v_lshlrev_b32_e32 v17, v12, v16
	v_cndmask_b32_e64 v4, 0, 1, vcc_lo
	v_cmp_gt_i32_e32 vcc_lo, 31, v15
	v_cvt_f32_f16_e32 v13, v13
	v_fma_f16 v8, v53, v20, -v8
	v_lshl_or_b32 v4, v4, 9, 0x7c00
	v_cndmask_b32_e32 v14, 0x7c00, v14, vcc_lo
	v_cmp_ne_u32_e32 vcc_lo, v17, v21
	v_cvt_f64_f32_e32 v[12:13], v13
	v_and_or_b32 v0, 0x1ff, v1, v0
	v_cvt_f32_f16_e32 v8, v8
	v_cndmask_b32_e64 v17, 0, 1, vcc_lo
	v_cmp_eq_u32_e32 vcc_lo, 0x40f, v15
	v_lshl_or_b32 v15, v18, 12, v2
	v_cndmask_b32_e32 v4, v14, v4, vcc_lo
	v_cmp_ne_u32_e32 vcc_lo, 0, v0
	v_or_b32_e32 v14, v16, v17
	v_lshrrev_b32_e32 v16, 8, v1
	v_bfe_u32 v17, v1, 20, 11
	v_cndmask_b32_e64 v0, 0, 1, vcc_lo
	v_cmp_gt_i32_e32 vcc_lo, 1, v18
	v_and_or_b32 v0, 0xffe, v16, v0
	v_sub_nc_u32_e32 v16, 0x3f1, v17
	v_cndmask_b32_e32 v14, v15, v14, vcc_lo
	v_and_or_b32 v15, 0x8000, v5, v4
	v_mul_f64 v[4:5], v[12:13], s[4:5]
	v_or_b32_e32 v21, 0x1000, v0
	v_med3_i32 v12, v16, 0, 13
	v_and_b32_e32 v19, 7, v14
	v_lshl_or_b32 v15, v15, 16, v10
	v_lshrrev_b32_e32 v13, 2, v14
	v_lshrrev_b32_e32 v10, v12, v21
	v_cmp_lt_i32_e32 vcc_lo, 5, v19
	v_cmp_eq_u32_e64 s0, 3, v19
	v_lshlrev_b32_e32 v12, v12, v10
	s_or_b32 vcc_lo, s0, vcc_lo
	v_add_co_ci_u32_e32 v14, vcc_lo, 0, v13, vcc_lo
	v_cmp_ne_u32_e32 vcc_lo, v12, v21
	v_cvt_f64_f32_e32 v[12:13], v8
	v_add_nc_u32_e32 v8, 0xfffffc10, v17
	v_and_or_b32 v4, 0x1ff, v5, v4
	v_cndmask_b32_e64 v16, 0, 1, vcc_lo
	v_cmp_gt_i32_e32 vcc_lo, 31, v18
	v_lshrrev_b32_e32 v17, 8, v5
	v_bfe_u32 v19, v5, 20, 11
	v_or_b32_e32 v10, v10, v16
	v_cndmask_b32_e32 v14, 0x7c00, v14, vcc_lo
	v_cmp_ne_u32_e32 vcc_lo, 0, v4
	v_lshl_or_b32 v16, v8, 12, v0
	v_cndmask_b32_e64 v4, 0, 1, vcc_lo
	v_cmp_ne_u32_e32 vcc_lo, 0, v2
	v_and_or_b32 v4, 0xffe, v17, v4
	v_cndmask_b32_e64 v2, 0, 1, vcc_lo
	v_cmp_gt_i32_e32 vcc_lo, 1, v8
	v_lshrrev_b32_e32 v17, 16, v11
	v_mul_f64 v[12:13], v[12:13], s[4:5]
	v_or_b32_e32 v21, 0x1000, v4
	v_lshl_or_b32 v2, v2, 9, 0x7c00
	v_cndmask_b32_e32 v10, v16, v10, vcc_lo
	v_sub_nc_u32_e32 v16, 0x3f1, v19
	v_cmp_eq_u32_e32 vcc_lo, 0x40f, v18
	v_mul_f16_sdwa v22, v51, v17 dst_sel:DWORD dst_unused:UNUSED_PAD src0_sel:WORD_1 src1_sel:DWORD
	v_add_nc_u32_e32 v19, 0xfffffc10, v19
	v_and_b32_e32 v20, 7, v10
	v_med3_i32 v16, v16, 0, 13
	v_cndmask_b32_e32 v2, v14, v2, vcc_lo
	v_fmac_f16_e32 v22, v51, v11
	v_cmp_lt_i32_e32 vcc_lo, 5, v20
	v_lshrrev_b32_e32 v14, v16, v21
	v_cmp_eq_u32_e64 s0, 3, v20
	v_and_or_b32 v18, 0x8000, v3, v2
	v_lshrrev_b32_e32 v2, 2, v10
	v_cvt_f32_f16_e32 v10, v22
	v_lshlrev_b32_e32 v3, v16, v14
	s_or_b32 vcc_lo, s0, vcc_lo
	v_add_co_ci_u32_e32 v16, vcc_lo, 0, v2, vcc_lo
	v_cmp_ne_u32_e32 vcc_lo, v3, v21
	v_cvt_f64_f32_e32 v[2:3], v10
	v_and_or_b32 v12, 0x1ff, v13, v12
	v_cndmask_b32_e64 v20, 0, 1, vcc_lo
	v_cmp_ne_u32_e32 vcc_lo, 0, v0
	v_or_b32_e32 v10, v14, v20
	v_cndmask_b32_e64 v0, 0, 1, vcc_lo
	v_cmp_gt_i32_e32 vcc_lo, 31, v8
	v_lshl_or_b32 v14, v19, 12, v4
	v_bfe_u32 v20, v13, 20, 11
	v_lshl_or_b32 v0, v0, 9, 0x7c00
	v_cndmask_b32_e32 v16, 0x7c00, v16, vcc_lo
	v_cmp_gt_i32_e32 vcc_lo, 1, v19
	v_cndmask_b32_e32 v10, v14, v10, vcc_lo
	v_cmp_ne_u32_e32 vcc_lo, 0, v12
	v_lshrrev_b32_e32 v14, 8, v13
	v_lshrrev_b32_e32 v13, 16, v13
	v_and_b32_e32 v21, 7, v10
	v_cndmask_b32_e64 v12, 0, 1, vcc_lo
	v_cmp_eq_u32_e32 vcc_lo, 0x40f, v8
	v_lshrrev_b32_e32 v10, 2, v10
	v_cmp_eq_u32_e64 s0, 3, v21
	v_and_or_b32 v12, 0xffe, v14, v12
	v_sub_nc_u32_e32 v14, 0x3f1, v20
	v_cndmask_b32_e32 v8, v16, v0, vcc_lo
	v_cmp_lt_i32_e32 vcc_lo, 5, v21
	v_lshrrev_b32_e32 v16, 16, v1
	v_mul_f64 v[0:1], v[2:3], s[4:5]
	v_or_b32_e32 v2, 0x1000, v12
	v_med3_i32 v3, v14, 0, 13
	s_or_b32 vcc_lo, s0, vcc_lo
	v_and_or_b32 v8, 0x8000, v16, v8
	v_add_co_ci_u32_e32 v10, vcc_lo, 0, v10, vcc_lo
	v_lshrrev_b32_e32 v16, v3, v2
	v_cmp_ne_u32_e32 vcc_lo, 0, v4
	v_and_b32_e32 v14, 0xffff, v18
	v_add_nc_u32_e32 v18, 0xfffffc10, v20
	v_lshlrev_b32_e32 v3, v3, v16
	v_cndmask_b32_e64 v4, 0, 1, vcc_lo
	v_cmp_gt_i32_e32 vcc_lo, 31, v19
	v_lshl_or_b32 v14, v8, 16, v14
	v_lshl_or_b32 v4, v4, 9, 0x7c00
	v_cndmask_b32_e32 v8, 0x7c00, v10, vcc_lo
	v_cmp_ne_u32_e32 vcc_lo, v3, v2
	v_mul_f16_sdwa v10, v51, v11 dst_sel:DWORD dst_unused:UNUSED_PAD src0_sel:WORD_1 src1_sel:DWORD
	v_and_or_b32 v0, 0x1ff, v1, v0
	v_lshrrev_b32_e32 v11, 8, v1
	v_cndmask_b32_e64 v2, 0, 1, vcc_lo
	v_cmp_eq_u32_e32 vcc_lo, 0x40f, v19
	v_fma_f16 v3, v51, v17, -v10
	v_lshl_or_b32 v10, v18, 12, v12
	v_lshrrev_b32_e32 v17, 16, v9
	v_cndmask_b32_e32 v8, v8, v4, vcc_lo
	v_cmp_ne_u32_e32 vcc_lo, 0, v0
	v_or_b32_e32 v4, v16, v2
	v_cvt_f32_f16_e32 v2, v3
	v_bfe_u32 v16, v1, 20, 11
	v_mul_f16_sdwa v22, v50, v17 dst_sel:DWORD dst_unused:UNUSED_PAD src0_sel:WORD_1 src1_sel:DWORD
	v_cndmask_b32_e64 v0, 0, 1, vcc_lo
	v_cmp_gt_i32_e32 vcc_lo, 1, v18
	v_cvt_f64_f32_e32 v[2:3], v2
	v_lshrrev_b32_e32 v1, 16, v1
	v_fmac_f16_e32 v22, v50, v9
	v_and_or_b32 v0, 0xffe, v11, v0
	v_cndmask_b32_e32 v10, v10, v4, vcc_lo
	v_sub_nc_u32_e32 v4, 0x3f1, v16
	v_lshrrev_b32_e32 v11, 16, v5
	v_add_nc_u32_e32 v16, 0xfffffc10, v16
	v_or_b32_e32 v20, 0x1000, v0
	v_and_b32_e32 v19, 7, v10
	v_med3_i32 v21, v4, 0, 13
	v_add_co_u32 v4, vcc_lo, v6, s7
	v_and_or_b32 v23, 0x8000, v11, v8
	v_add_co_ci_u32_e32 v5, vcc_lo, s6, v7, vcc_lo
	v_lshrrev_b32_e32 v8, v21, v20
	v_cmp_lt_i32_e32 vcc_lo, 5, v19
	v_cmp_eq_u32_e64 s0, 3, v19
	v_lshrrev_b32_e32 v10, 2, v10
	v_cvt_f32_f16_e32 v11, v22
	v_lshlrev_b32_e32 v19, v21, v8
	v_mul_f64 v[2:3], v[2:3], s[4:5]
	s_or_b32 vcc_lo, s0, vcc_lo
	v_mul_f16_sdwa v9, v50, v9 dst_sel:DWORD dst_unused:UNUSED_PAD src0_sel:WORD_1 src1_sel:DWORD
	v_add_co_ci_u32_e32 v21, vcc_lo, 0, v10, vcc_lo
	v_cmp_ne_u32_e32 vcc_lo, v19, v20
	v_cvt_f64_f32_e32 v[10:11], v11
	v_fma_f16 v9, v50, v17, -v9
	v_cndmask_b32_e64 v19, 0, 1, vcc_lo
	v_cmp_ne_u32_e32 vcc_lo, 0, v12
	v_or_b32_e32 v8, v8, v19
	v_cndmask_b32_e64 v12, 0, 1, vcc_lo
	v_cmp_gt_i32_e32 vcc_lo, 31, v18
	v_lshl_or_b32 v19, v16, 12, v0
	v_lshl_or_b32 v12, v12, 9, 0x7c00
	v_cndmask_b32_e32 v17, 0x7c00, v21, vcc_lo
	v_cmp_gt_i32_e32 vcc_lo, 1, v16
	v_and_or_b32 v2, 0x1ff, v3, v2
	v_bfe_u32 v20, v3, 20, 11
	v_cndmask_b32_e32 v19, v19, v8, vcc_lo
	v_cvt_f32_f16_e32 v8, v9
	v_cmp_eq_u32_e32 vcc_lo, 0x40f, v18
	v_mul_f64 v[10:11], v[10:11], s[4:5]
	v_lshrrev_b32_e32 v18, 8, v3
	v_lshrrev_b32_e32 v3, 16, v3
	v_cvt_f64_f32_e32 v[8:9], v8
	v_cndmask_b32_e32 v12, v17, v12, vcc_lo
	v_cmp_ne_u32_e32 vcc_lo, 0, v2
	v_and_b32_e32 v17, 7, v19
	v_and_or_b32 v12, 0x8000, v13, v12
	v_and_b32_e32 v13, 0xffff, v23
	v_cndmask_b32_e64 v2, 0, 1, vcc_lo
	v_cmp_lt_i32_e32 vcc_lo, 5, v17
	v_cmp_eq_u32_e64 s0, 3, v17
	v_lshl_or_b32 v12, v12, 16, v13
	v_lshrrev_b32_e32 v13, 2, v19
	v_and_or_b32 v2, 0xffe, v18, v2
	v_sub_nc_u32_e32 v18, 0x3f1, v20
	s_or_b32 vcc_lo, s0, vcc_lo
	v_add_co_ci_u32_e32 v13, vcc_lo, 0, v13, vcc_lo
	v_or_b32_e32 v17, 0x1000, v2
	v_med3_i32 v18, v18, 0, 13
	v_cmp_ne_u32_e32 vcc_lo, 0, v0
	v_and_or_b32 v10, 0x1ff, v11, v10
	v_mul_f64 v[8:9], v[8:9], s[4:5]
	v_lshrrev_b32_e32 v21, 8, v11
	v_lshrrev_b32_e32 v19, v18, v17
	v_cndmask_b32_e64 v0, 0, 1, vcc_lo
	v_cmp_gt_i32_e32 vcc_lo, 31, v16
	v_bfe_u32 v22, v11, 20, 11
	v_lshrrev_b32_e32 v11, 16, v11
	v_lshlrev_b32_e32 v18, v18, v19
	v_lshl_or_b32 v0, v0, 9, 0x7c00
	v_cndmask_b32_e32 v13, 0x7c00, v13, vcc_lo
	v_cmp_ne_u32_e32 vcc_lo, 0, v10
	v_cndmask_b32_e64 v10, 0, 1, vcc_lo
	v_cmp_ne_u32_e32 vcc_lo, v18, v17
	v_add_nc_u32_e32 v18, 0xfffffc10, v20
	v_sub_nc_u32_e32 v20, 0x3f1, v22
	v_and_or_b32 v10, 0xffe, v21, v10
	v_cndmask_b32_e64 v17, 0, 1, vcc_lo
	v_cmp_eq_u32_e32 vcc_lo, 0x40f, v16
	v_lshl_or_b32 v16, v18, 12, v2
	v_and_or_b32 v8, 0x1ff, v9, v8
	v_bfe_u32 v21, v9, 20, 11
	v_cndmask_b32_e32 v0, v13, v0, vcc_lo
	v_or_b32_e32 v13, v19, v17
	v_or_b32_e32 v17, 0x1000, v10
	v_med3_i32 v19, v20, 0, 13
	v_cmp_gt_i32_e32 vcc_lo, 1, v18
	v_lshrrev_b32_e32 v20, 8, v9
	v_and_or_b32 v0, 0x8000, v1, v0
	v_lshrrev_b32_e32 v9, 16, v9
	v_cndmask_b32_e32 v13, v16, v13, vcc_lo
	v_lshrrev_b32_e32 v16, v19, v17
	v_cmp_ne_u32_e32 vcc_lo, 0, v8
	v_and_b32_e32 v23, 7, v13
	v_lshlrev_b32_e32 v19, v19, v16
	v_cndmask_b32_e64 v8, 0, 1, vcc_lo
	v_lshrrev_b32_e32 v13, 2, v13
	v_cmp_lt_i32_e32 vcc_lo, 5, v23
	v_cmp_ne_u32_e64 s0, v19, v17
	v_and_or_b32 v1, 0xffe, v20, v8
	v_sub_nc_u32_e32 v8, 0x3f1, v21
	v_add_nc_u32_e32 v20, 0xfffffc10, v22
	v_cndmask_b32_e64 v17, 0, 1, s0
	v_cmp_eq_u32_e64 s0, 3, v23
	v_or_b32_e32 v19, 0x1000, v1
	v_med3_i32 v8, v8, 0, 13
	v_lshl_or_b32 v22, v20, 12, v10
	v_or_b32_e32 v16, v16, v17
	s_or_b32 vcc_lo, s0, vcc_lo
	v_add_co_ci_u32_e32 v13, vcc_lo, 0, v13, vcc_lo
	v_lshrrev_b32_e32 v17, v8, v19
	v_cmp_gt_i32_e32 vcc_lo, 1, v20
	v_lshlrev_b32_e32 v8, v8, v17
	v_cndmask_b32_e32 v16, v22, v16, vcc_lo
	v_cmp_ne_u32_e32 vcc_lo, 0, v2
	v_cndmask_b32_e64 v2, 0, 1, vcc_lo
	v_cmp_ne_u32_e32 vcc_lo, v8, v19
	v_add_nc_u32_e32 v19, 0xfffffc10, v21
	v_and_b32_e32 v21, 7, v16
	v_lshl_or_b32 v2, v2, 9, 0x7c00
	v_cndmask_b32_e64 v8, 0, 1, vcc_lo
	v_cmp_gt_i32_e32 vcc_lo, 31, v18
	v_cmp_gt_i32_e64 s1, 1, v19
	v_cmp_eq_u32_e64 s0, 3, v21
	v_or_b32_e32 v8, v17, v8
	v_lshl_or_b32 v17, v19, 12, v1
	v_cndmask_b32_e32 v13, 0x7c00, v13, vcc_lo
	v_cmp_lt_i32_e32 vcc_lo, 5, v21
	v_cndmask_b32_e64 v8, v17, v8, s1
	v_cmp_eq_u32_e64 s1, 0x40f, v18
	s_or_b32 vcc_lo, s0, vcc_lo
	v_cndmask_b32_e64 v2, v13, v2, s1
	v_lshrrev_b32_e32 v13, 2, v16
	v_and_b32_e32 v16, 7, v8
	v_lshrrev_b32_e32 v8, 2, v8
	v_cmp_gt_i32_e64 s1, 31, v20
	v_and_or_b32 v2, 0x8000, v3, v2
	v_add_co_ci_u32_e32 v13, vcc_lo, 0, v13, vcc_lo
	v_cmp_ne_u32_e32 vcc_lo, 0, v10
	v_cmp_eq_u32_e64 s0, 3, v16
	v_and_b32_e32 v3, 0xffff, v0
	v_cndmask_b32_e64 v13, 0x7c00, v13, s1
	v_cndmask_b32_e64 v10, 0, 1, vcc_lo
	v_cmp_lt_i32_e32 vcc_lo, 5, v16
	v_lshl_or_b32 v10, v10, 9, 0x7c00
	s_or_b32 vcc_lo, s0, vcc_lo
	v_add_co_ci_u32_e32 v8, vcc_lo, 0, v8, vcc_lo
	v_cmp_ne_u32_e32 vcc_lo, 0, v1
	v_cndmask_b32_e64 v1, 0, 1, vcc_lo
	v_cmp_eq_u32_e32 vcc_lo, 0x40f, v20
	v_lshl_or_b32 v1, v1, 9, 0x7c00
	v_cndmask_b32_e32 v10, v13, v10, vcc_lo
	v_cmp_gt_i32_e32 vcc_lo, 31, v19
	v_and_or_b32 v10, 0x8000, v11, v10
	v_cndmask_b32_e32 v8, 0x7c00, v8, vcc_lo
	v_cmp_eq_u32_e32 vcc_lo, 0x40f, v19
	v_lshl_or_b32 v11, v2, 16, v3
	v_cndmask_b32_e32 v8, v8, v1, vcc_lo
	v_add_co_u32 v0, vcc_lo, v4, s3
	v_add_co_ci_u32_e32 v1, vcc_lo, s2, v5, vcc_lo
	v_and_or_b32 v8, 0x8000, v9, v8
	v_and_b32_e32 v9, 0xffff, v10
	v_add_co_u32 v2, vcc_lo, v0, s7
	v_add_co_ci_u32_e32 v3, vcc_lo, s6, v1, vcc_lo
	v_lshl_or_b32 v10, v8, 16, v9
	v_add_co_u32 v8, vcc_lo, v2, s3
	v_add_co_ci_u32_e32 v9, vcc_lo, s2, v3, vcc_lo
	global_store_dword v[6:7], v15, off
	global_store_dword v[4:5], v14, off
	;; [unrolled: 1-line block ×5, first 2 shown]
.LBB0_10:
	s_endpgm
	.section	.rodata,"a",@progbits
	.p2align	6, 0x0
	.amdhsa_kernel bluestein_single_back_len756_dim1_half_op_CI_CI
		.amdhsa_group_segment_fixed_size 3024
		.amdhsa_private_segment_fixed_size 0
		.amdhsa_kernarg_size 104
		.amdhsa_user_sgpr_count 6
		.amdhsa_user_sgpr_private_segment_buffer 1
		.amdhsa_user_sgpr_dispatch_ptr 0
		.amdhsa_user_sgpr_queue_ptr 0
		.amdhsa_user_sgpr_kernarg_segment_ptr 1
		.amdhsa_user_sgpr_dispatch_id 0
		.amdhsa_user_sgpr_flat_scratch_init 0
		.amdhsa_user_sgpr_private_segment_size 0
		.amdhsa_wavefront_size32 1
		.amdhsa_uses_dynamic_stack 0
		.amdhsa_system_sgpr_private_segment_wavefront_offset 0
		.amdhsa_system_sgpr_workgroup_id_x 1
		.amdhsa_system_sgpr_workgroup_id_y 0
		.amdhsa_system_sgpr_workgroup_id_z 0
		.amdhsa_system_sgpr_workgroup_info 0
		.amdhsa_system_vgpr_workitem_id 0
		.amdhsa_next_free_vgpr 131
		.amdhsa_next_free_sgpr 20
		.amdhsa_reserve_vcc 1
		.amdhsa_reserve_flat_scratch 0
		.amdhsa_float_round_mode_32 0
		.amdhsa_float_round_mode_16_64 0
		.amdhsa_float_denorm_mode_32 3
		.amdhsa_float_denorm_mode_16_64 3
		.amdhsa_dx10_clamp 1
		.amdhsa_ieee_mode 1
		.amdhsa_fp16_overflow 0
		.amdhsa_workgroup_processor_mode 1
		.amdhsa_memory_ordered 1
		.amdhsa_forward_progress 0
		.amdhsa_shared_vgpr_count 0
		.amdhsa_exception_fp_ieee_invalid_op 0
		.amdhsa_exception_fp_denorm_src 0
		.amdhsa_exception_fp_ieee_div_zero 0
		.amdhsa_exception_fp_ieee_overflow 0
		.amdhsa_exception_fp_ieee_underflow 0
		.amdhsa_exception_fp_ieee_inexact 0
		.amdhsa_exception_int_div_zero 0
	.end_amdhsa_kernel
	.text
.Lfunc_end0:
	.size	bluestein_single_back_len756_dim1_half_op_CI_CI, .Lfunc_end0-bluestein_single_back_len756_dim1_half_op_CI_CI
                                        ; -- End function
	.section	.AMDGPU.csdata,"",@progbits
; Kernel info:
; codeLenInByte = 19732
; NumSgprs: 22
; NumVgprs: 131
; ScratchSize: 0
; MemoryBound: 0
; FloatMode: 240
; IeeeMode: 1
; LDSByteSize: 3024 bytes/workgroup (compile time only)
; SGPRBlocks: 2
; VGPRBlocks: 16
; NumSGPRsForWavesPerEU: 22
; NumVGPRsForWavesPerEU: 131
; Occupancy: 7
; WaveLimiterHint : 1
; COMPUTE_PGM_RSRC2:SCRATCH_EN: 0
; COMPUTE_PGM_RSRC2:USER_SGPR: 6
; COMPUTE_PGM_RSRC2:TRAP_HANDLER: 0
; COMPUTE_PGM_RSRC2:TGID_X_EN: 1
; COMPUTE_PGM_RSRC2:TGID_Y_EN: 0
; COMPUTE_PGM_RSRC2:TGID_Z_EN: 0
; COMPUTE_PGM_RSRC2:TIDIG_COMP_CNT: 0
	.text
	.p2alignl 6, 3214868480
	.fill 48, 4, 3214868480
	.type	__hip_cuid_36d5ee78ae6513da,@object ; @__hip_cuid_36d5ee78ae6513da
	.section	.bss,"aw",@nobits
	.globl	__hip_cuid_36d5ee78ae6513da
__hip_cuid_36d5ee78ae6513da:
	.byte	0                               ; 0x0
	.size	__hip_cuid_36d5ee78ae6513da, 1

	.ident	"AMD clang version 19.0.0git (https://github.com/RadeonOpenCompute/llvm-project roc-6.4.0 25133 c7fe45cf4b819c5991fe208aaa96edf142730f1d)"
	.section	".note.GNU-stack","",@progbits
	.addrsig
	.addrsig_sym __hip_cuid_36d5ee78ae6513da
	.amdgpu_metadata
---
amdhsa.kernels:
  - .args:
      - .actual_access:  read_only
        .address_space:  global
        .offset:         0
        .size:           8
        .value_kind:     global_buffer
      - .actual_access:  read_only
        .address_space:  global
        .offset:         8
        .size:           8
        .value_kind:     global_buffer
      - .actual_access:  read_only
        .address_space:  global
        .offset:         16
        .size:           8
        .value_kind:     global_buffer
      - .actual_access:  read_only
        .address_space:  global
        .offset:         24
        .size:           8
        .value_kind:     global_buffer
      - .actual_access:  read_only
        .address_space:  global
        .offset:         32
        .size:           8
        .value_kind:     global_buffer
      - .offset:         40
        .size:           8
        .value_kind:     by_value
      - .address_space:  global
        .offset:         48
        .size:           8
        .value_kind:     global_buffer
      - .address_space:  global
        .offset:         56
        .size:           8
        .value_kind:     global_buffer
      - .address_space:  global
        .offset:         64
        .size:           8
        .value_kind:     global_buffer
      - .address_space:  global
        .offset:         72
        .size:           8
        .value_kind:     global_buffer
      - .offset:         80
        .size:           4
        .value_kind:     by_value
      - .address_space:  global
        .offset:         88
        .size:           8
        .value_kind:     global_buffer
      - .address_space:  global
        .offset:         96
        .size:           8
        .value_kind:     global_buffer
    .group_segment_fixed_size: 3024
    .kernarg_segment_align: 8
    .kernarg_segment_size: 104
    .language:       OpenCL C
    .language_version:
      - 2
      - 0
    .max_flat_workgroup_size: 63
    .name:           bluestein_single_back_len756_dim1_half_op_CI_CI
    .private_segment_fixed_size: 0
    .sgpr_count:     22
    .sgpr_spill_count: 0
    .symbol:         bluestein_single_back_len756_dim1_half_op_CI_CI.kd
    .uniform_work_group_size: 1
    .uses_dynamic_stack: false
    .vgpr_count:     131
    .vgpr_spill_count: 0
    .wavefront_size: 32
    .workgroup_processor_mode: 1
amdhsa.target:   amdgcn-amd-amdhsa--gfx1030
amdhsa.version:
  - 1
  - 2
...

	.end_amdgpu_metadata
